;; amdgpu-corpus repo=ROCm/rocFFT kind=compiled arch=gfx1201 opt=O3
	.text
	.amdgcn_target "amdgcn-amd-amdhsa--gfx1201"
	.amdhsa_code_object_version 6
	.protected	fft_rtc_fwd_len595_factors_7_17_5_wgs_51_tpt_17_halfLds_half_ip_CI_sbrr_dirReg ; -- Begin function fft_rtc_fwd_len595_factors_7_17_5_wgs_51_tpt_17_halfLds_half_ip_CI_sbrr_dirReg
	.globl	fft_rtc_fwd_len595_factors_7_17_5_wgs_51_tpt_17_halfLds_half_ip_CI_sbrr_dirReg
	.p2align	8
	.type	fft_rtc_fwd_len595_factors_7_17_5_wgs_51_tpt_17_halfLds_half_ip_CI_sbrr_dirReg,@function
fft_rtc_fwd_len595_factors_7_17_5_wgs_51_tpt_17_halfLds_half_ip_CI_sbrr_dirReg: ; @fft_rtc_fwd_len595_factors_7_17_5_wgs_51_tpt_17_halfLds_half_ip_CI_sbrr_dirReg
; %bb.0:
	s_clause 0x1
	s_load_b64 s[12:13], s[0:1], 0x18
	s_load_b128 s[4:7], s[0:1], 0x0
	v_mul_u32_u24_e32 v1, 0xf10, v0
	v_mov_b32_e32 v5, 0
	s_load_b64 s[10:11], s[0:1], 0x50
	s_wait_kmcnt 0x0
	s_load_b64 s[8:9], s[12:13], 0x0
	v_lshrrev_b32_e32 v1, 16, v1
	v_cmp_lt_u64_e64 s2, s[6:7], 2
	s_delay_alu instid0(VALU_DEP_2) | instskip(SKIP_4) | instid1(VALU_DEP_1)
	v_mad_co_u64_u32 v[1:2], null, ttmp9, 3, v[1:2]
	v_mov_b32_e32 v3, 0
	v_mov_b32_e32 v4, 0
	;; [unrolled: 1-line block ×3, first 2 shown]
	s_and_b32 vcc_lo, exec_lo, s2
	v_dual_mov_b32 v10, v2 :: v_dual_mov_b32 v9, v1
	s_cbranch_vccnz .LBB0_8
; %bb.1:
	s_load_b64 s[2:3], s[0:1], 0x10
	v_dual_mov_b32 v3, 0 :: v_dual_mov_b32 v8, v2
	v_dual_mov_b32 v4, 0 :: v_dual_mov_b32 v7, v1
	s_add_nc_u64 s[14:15], s[12:13], 8
	s_mov_b64 s[16:17], 1
	s_wait_kmcnt 0x0
	s_add_nc_u64 s[18:19], s[2:3], 8
	s_mov_b32 s3, 0
.LBB0_2:                                ; =>This Inner Loop Header: Depth=1
	s_load_b64 s[20:21], s[18:19], 0x0
                                        ; implicit-def: $vgpr9_vgpr10
	s_mov_b32 s2, exec_lo
	s_wait_kmcnt 0x0
	v_or_b32_e32 v6, s21, v8
	s_delay_alu instid0(VALU_DEP_1)
	v_cmpx_ne_u64_e32 0, v[5:6]
	s_wait_alu 0xfffe
	s_xor_b32 s22, exec_lo, s2
	s_cbranch_execz .LBB0_4
; %bb.3:                                ;   in Loop: Header=BB0_2 Depth=1
	s_cvt_f32_u32 s2, s20
	s_cvt_f32_u32 s23, s21
	s_sub_nc_u64 s[26:27], 0, s[20:21]
	s_wait_alu 0xfffe
	s_delay_alu instid0(SALU_CYCLE_1) | instskip(SKIP_1) | instid1(SALU_CYCLE_2)
	s_fmamk_f32 s2, s23, 0x4f800000, s2
	s_wait_alu 0xfffe
	v_s_rcp_f32 s2, s2
	s_delay_alu instid0(TRANS32_DEP_1) | instskip(SKIP_1) | instid1(SALU_CYCLE_2)
	s_mul_f32 s2, s2, 0x5f7ffffc
	s_wait_alu 0xfffe
	s_mul_f32 s23, s2, 0x2f800000
	s_wait_alu 0xfffe
	s_delay_alu instid0(SALU_CYCLE_2) | instskip(SKIP_1) | instid1(SALU_CYCLE_2)
	s_trunc_f32 s23, s23
	s_wait_alu 0xfffe
	s_fmamk_f32 s2, s23, 0xcf800000, s2
	s_cvt_u32_f32 s25, s23
	s_wait_alu 0xfffe
	s_delay_alu instid0(SALU_CYCLE_1) | instskip(SKIP_1) | instid1(SALU_CYCLE_2)
	s_cvt_u32_f32 s24, s2
	s_wait_alu 0xfffe
	s_mul_u64 s[28:29], s[26:27], s[24:25]
	s_wait_alu 0xfffe
	s_mul_hi_u32 s31, s24, s29
	s_mul_i32 s30, s24, s29
	s_mul_hi_u32 s2, s24, s28
	s_mul_i32 s33, s25, s28
	s_wait_alu 0xfffe
	s_add_nc_u64 s[30:31], s[2:3], s[30:31]
	s_mul_hi_u32 s23, s25, s28
	s_mul_hi_u32 s34, s25, s29
	s_add_co_u32 s2, s30, s33
	s_wait_alu 0xfffe
	s_add_co_ci_u32 s2, s31, s23
	s_mul_i32 s28, s25, s29
	s_add_co_ci_u32 s29, s34, 0
	s_wait_alu 0xfffe
	s_add_nc_u64 s[28:29], s[2:3], s[28:29]
	s_wait_alu 0xfffe
	v_add_co_u32 v2, s2, s24, s28
	s_delay_alu instid0(VALU_DEP_1) | instskip(SKIP_1) | instid1(VALU_DEP_1)
	s_cmp_lg_u32 s2, 0
	s_add_co_ci_u32 s25, s25, s29
	v_readfirstlane_b32 s24, v2
	s_wait_alu 0xfffe
	s_delay_alu instid0(VALU_DEP_1)
	s_mul_u64 s[26:27], s[26:27], s[24:25]
	s_wait_alu 0xfffe
	s_mul_hi_u32 s29, s24, s27
	s_mul_i32 s28, s24, s27
	s_mul_hi_u32 s2, s24, s26
	s_mul_i32 s30, s25, s26
	s_wait_alu 0xfffe
	s_add_nc_u64 s[28:29], s[2:3], s[28:29]
	s_mul_hi_u32 s23, s25, s26
	s_mul_hi_u32 s24, s25, s27
	s_wait_alu 0xfffe
	s_add_co_u32 s2, s28, s30
	s_add_co_ci_u32 s2, s29, s23
	s_mul_i32 s26, s25, s27
	s_add_co_ci_u32 s27, s24, 0
	s_wait_alu 0xfffe
	s_add_nc_u64 s[26:27], s[2:3], s[26:27]
	s_wait_alu 0xfffe
	v_add_co_u32 v2, s2, v2, s26
	s_delay_alu instid0(VALU_DEP_1) | instskip(SKIP_1) | instid1(VALU_DEP_1)
	s_cmp_lg_u32 s2, 0
	s_add_co_ci_u32 s2, s25, s27
	v_mul_hi_u32 v6, v7, v2
	s_wait_alu 0xfffe
	v_mad_co_u64_u32 v[9:10], null, v7, s2, 0
	v_mad_co_u64_u32 v[11:12], null, v8, v2, 0
	;; [unrolled: 1-line block ×3, first 2 shown]
	s_delay_alu instid0(VALU_DEP_3) | instskip(SKIP_1) | instid1(VALU_DEP_4)
	v_add_co_u32 v2, vcc_lo, v6, v9
	s_wait_alu 0xfffd
	v_add_co_ci_u32_e32 v6, vcc_lo, 0, v10, vcc_lo
	s_delay_alu instid0(VALU_DEP_2) | instskip(SKIP_1) | instid1(VALU_DEP_2)
	v_add_co_u32 v2, vcc_lo, v2, v11
	s_wait_alu 0xfffd
	v_add_co_ci_u32_e32 v2, vcc_lo, v6, v12, vcc_lo
	s_wait_alu 0xfffd
	v_add_co_ci_u32_e32 v6, vcc_lo, 0, v14, vcc_lo
	s_delay_alu instid0(VALU_DEP_2) | instskip(SKIP_1) | instid1(VALU_DEP_2)
	v_add_co_u32 v2, vcc_lo, v2, v13
	s_wait_alu 0xfffd
	v_add_co_ci_u32_e32 v6, vcc_lo, 0, v6, vcc_lo
	s_delay_alu instid0(VALU_DEP_2) | instskip(SKIP_1) | instid1(VALU_DEP_3)
	v_mul_lo_u32 v11, s21, v2
	v_mad_co_u64_u32 v[9:10], null, s20, v2, 0
	v_mul_lo_u32 v12, s20, v6
	s_delay_alu instid0(VALU_DEP_2) | instskip(NEXT) | instid1(VALU_DEP_2)
	v_sub_co_u32 v9, vcc_lo, v7, v9
	v_add3_u32 v10, v10, v12, v11
	s_delay_alu instid0(VALU_DEP_1) | instskip(SKIP_1) | instid1(VALU_DEP_1)
	v_sub_nc_u32_e32 v11, v8, v10
	s_wait_alu 0xfffd
	v_subrev_co_ci_u32_e64 v11, s2, s21, v11, vcc_lo
	v_add_co_u32 v12, s2, v2, 2
	s_wait_alu 0xf1ff
	v_add_co_ci_u32_e64 v13, s2, 0, v6, s2
	v_sub_co_u32 v14, s2, v9, s20
	v_sub_co_ci_u32_e32 v10, vcc_lo, v8, v10, vcc_lo
	s_wait_alu 0xf1ff
	v_subrev_co_ci_u32_e64 v11, s2, 0, v11, s2
	s_delay_alu instid0(VALU_DEP_3) | instskip(NEXT) | instid1(VALU_DEP_3)
	v_cmp_le_u32_e32 vcc_lo, s20, v14
	v_cmp_eq_u32_e64 s2, s21, v10
	s_wait_alu 0xfffd
	v_cndmask_b32_e64 v14, 0, -1, vcc_lo
	v_cmp_le_u32_e32 vcc_lo, s21, v11
	s_wait_alu 0xfffd
	v_cndmask_b32_e64 v15, 0, -1, vcc_lo
	v_cmp_le_u32_e32 vcc_lo, s20, v9
	;; [unrolled: 3-line block ×3, first 2 shown]
	s_wait_alu 0xfffd
	v_cndmask_b32_e64 v16, 0, -1, vcc_lo
	v_cmp_eq_u32_e32 vcc_lo, s21, v11
	s_wait_alu 0xf1ff
	s_delay_alu instid0(VALU_DEP_2)
	v_cndmask_b32_e64 v9, v16, v9, s2
	s_wait_alu 0xfffd
	v_cndmask_b32_e32 v11, v15, v14, vcc_lo
	v_add_co_u32 v14, vcc_lo, v2, 1
	s_wait_alu 0xfffd
	v_add_co_ci_u32_e32 v15, vcc_lo, 0, v6, vcc_lo
	s_delay_alu instid0(VALU_DEP_3) | instskip(SKIP_1) | instid1(VALU_DEP_2)
	v_cmp_ne_u32_e32 vcc_lo, 0, v11
	s_wait_alu 0xfffd
	v_dual_cndmask_b32 v10, v15, v13 :: v_dual_cndmask_b32 v11, v14, v12
	v_cmp_ne_u32_e32 vcc_lo, 0, v9
	s_wait_alu 0xfffd
	s_delay_alu instid0(VALU_DEP_2) | instskip(NEXT) | instid1(VALU_DEP_3)
	v_cndmask_b32_e32 v10, v6, v10, vcc_lo
	v_cndmask_b32_e32 v9, v2, v11, vcc_lo
.LBB0_4:                                ;   in Loop: Header=BB0_2 Depth=1
	s_wait_alu 0xfffe
	s_and_not1_saveexec_b32 s2, s22
	s_cbranch_execz .LBB0_6
; %bb.5:                                ;   in Loop: Header=BB0_2 Depth=1
	v_cvt_f32_u32_e32 v2, s20
	s_sub_co_i32 s22, 0, s20
	s_delay_alu instid0(VALU_DEP_1) | instskip(NEXT) | instid1(TRANS32_DEP_1)
	v_rcp_iflag_f32_e32 v2, v2
	v_mul_f32_e32 v2, 0x4f7ffffe, v2
	s_delay_alu instid0(VALU_DEP_1) | instskip(SKIP_1) | instid1(VALU_DEP_1)
	v_cvt_u32_f32_e32 v2, v2
	s_wait_alu 0xfffe
	v_mul_lo_u32 v6, s22, v2
	s_delay_alu instid0(VALU_DEP_1) | instskip(NEXT) | instid1(VALU_DEP_1)
	v_mul_hi_u32 v6, v2, v6
	v_add_nc_u32_e32 v2, v2, v6
	s_delay_alu instid0(VALU_DEP_1) | instskip(NEXT) | instid1(VALU_DEP_1)
	v_mul_hi_u32 v2, v7, v2
	v_mul_lo_u32 v6, v2, s20
	v_add_nc_u32_e32 v9, 1, v2
	s_delay_alu instid0(VALU_DEP_2) | instskip(NEXT) | instid1(VALU_DEP_1)
	v_sub_nc_u32_e32 v6, v7, v6
	v_subrev_nc_u32_e32 v10, s20, v6
	v_cmp_le_u32_e32 vcc_lo, s20, v6
	s_wait_alu 0xfffd
	s_delay_alu instid0(VALU_DEP_2) | instskip(SKIP_2) | instid1(VALU_DEP_3)
	v_cndmask_b32_e32 v6, v6, v10, vcc_lo
	v_mov_b32_e32 v10, v5
	v_cndmask_b32_e32 v2, v2, v9, vcc_lo
	v_cmp_le_u32_e32 vcc_lo, s20, v6
	s_delay_alu instid0(VALU_DEP_2) | instskip(SKIP_1) | instid1(VALU_DEP_1)
	v_add_nc_u32_e32 v9, 1, v2
	s_wait_alu 0xfffd
	v_cndmask_b32_e32 v9, v2, v9, vcc_lo
.LBB0_6:                                ;   in Loop: Header=BB0_2 Depth=1
	s_wait_alu 0xfffe
	s_or_b32 exec_lo, exec_lo, s2
	s_load_b64 s[22:23], s[14:15], 0x0
	v_mul_lo_u32 v2, v10, s20
	v_mul_lo_u32 v6, v9, s21
	v_mad_co_u64_u32 v[11:12], null, v9, s20, 0
	s_add_nc_u64 s[16:17], s[16:17], 1
	s_add_nc_u64 s[14:15], s[14:15], 8
	s_wait_alu 0xfffe
	v_cmp_ge_u64_e64 s2, s[16:17], s[6:7]
	s_add_nc_u64 s[18:19], s[18:19], 8
	s_delay_alu instid0(VALU_DEP_2) | instskip(NEXT) | instid1(VALU_DEP_3)
	v_add3_u32 v2, v12, v6, v2
	v_sub_co_u32 v6, vcc_lo, v7, v11
	s_wait_alu 0xfffd
	s_delay_alu instid0(VALU_DEP_2) | instskip(SKIP_3) | instid1(VALU_DEP_2)
	v_sub_co_ci_u32_e32 v2, vcc_lo, v8, v2, vcc_lo
	s_and_b32 vcc_lo, exec_lo, s2
	s_wait_kmcnt 0x0
	v_mul_lo_u32 v7, s23, v6
	v_mul_lo_u32 v2, s22, v2
	v_mad_co_u64_u32 v[3:4], null, s22, v6, v[3:4]
	s_delay_alu instid0(VALU_DEP_1)
	v_add3_u32 v4, v7, v4, v2
	s_wait_alu 0xfffe
	s_cbranch_vccnz .LBB0_8
; %bb.7:                                ;   in Loop: Header=BB0_2 Depth=1
	v_dual_mov_b32 v7, v9 :: v_dual_mov_b32 v8, v10
	s_branch .LBB0_2
.LBB0_8:
	s_lshl_b64 s[2:3], s[6:7], 3
	v_mul_hi_u32 v2, 0xf0f0f10, v0
	s_wait_alu 0xfffe
	s_add_nc_u64 s[2:3], s[12:13], s[2:3]
	s_load_b64 s[0:1], s[0:1], 0x20
	s_load_b64 s[2:3], s[2:3], 0x0
                                        ; implicit-def: $vgpr39
                                        ; implicit-def: $vgpr41
                                        ; implicit-def: $vgpr42
                                        ; implicit-def: $vgpr43
	s_delay_alu instid0(VALU_DEP_1) | instskip(NEXT) | instid1(VALU_DEP_1)
	v_mul_u32_u24_e32 v2, 17, v2
	v_sub_nc_u32_e32 v36, v0, v2
	s_delay_alu instid0(VALU_DEP_1)
	v_add_nc_u32_e32 v31, 17, v36
	v_add_nc_u32_e32 v28, 34, v36
	;; [unrolled: 1-line block ×4, first 2 shown]
	s_wait_kmcnt 0x0
	v_cmp_gt_u64_e32 vcc_lo, s[0:1], v[9:10]
	v_mul_lo_u32 v0, s2, v10
	v_mul_lo_u32 v5, s3, v9
	v_mad_co_u64_u32 v[2:3], null, s2, v9, v[3:4]
	v_cmp_le_u64_e64 s0, s[0:1], v[9:10]
                                        ; implicit-def: $sgpr2
	s_delay_alu instid0(VALU_DEP_2) | instskip(NEXT) | instid1(VALU_DEP_2)
	v_add3_u32 v3, v5, v3, v0
	s_and_saveexec_b32 s1, s0
	s_wait_alu 0xfffe
	s_xor_b32 s0, exec_lo, s1
; %bb.9:
	v_add_nc_u32_e32 v39, 17, v36
	v_add_nc_u32_e32 v41, 34, v36
	;; [unrolled: 1-line block ×4, first 2 shown]
	s_mov_b32 s2, 0
; %bb.10:
	s_wait_alu 0xfffe
	s_or_saveexec_b32 s1, s0
	v_lshlrev_b64_e32 v[20:21], 2, v[2:3]
	v_dual_mov_b32 v0, s2 :: v_dual_add_nc_u32 v25, 0x55, v36
	v_dual_mov_b32 v5, s2 :: v_dual_add_nc_u32 v32, 0xff, v36
	;; [unrolled: 1-line block ×10, first 2 shown]
	v_dual_mov_b32 v12, s2 :: v_dual_mov_b32 v49, s2
	v_dual_mov_b32 v48, s2 :: v_dual_mov_b32 v45, s2
	v_dual_mov_b32 v50, s2 :: v_dual_mov_b32 v15, s2
	v_mov_b32_e32 v46, s2
	v_mov_b32_e32 v40, s2
	;; [unrolled: 1-line block ×4, first 2 shown]
                                        ; implicit-def: $vgpr82
                                        ; implicit-def: $vgpr4
                                        ; implicit-def: $vgpr81
                                        ; implicit-def: $vgpr9
                                        ; implicit-def: $vgpr77
                                        ; implicit-def: $vgpr78
                                        ; implicit-def: $vgpr76
                                        ; implicit-def: $vgpr80
                                        ; implicit-def: $vgpr6
                                        ; implicit-def: $vgpr85
                                        ; implicit-def: $vgpr7
                                        ; implicit-def: $vgpr8
                                        ; implicit-def: $vgpr10
                                        ; implicit-def: $vgpr11
                                        ; implicit-def: $vgpr13
                                        ; implicit-def: $vgpr14
                                        ; implicit-def: $vgpr19
                                        ; implicit-def: $vgpr51
                                        ; implicit-def: $vgpr86
                                        ; implicit-def: $vgpr87
	s_wait_alu 0xfffe
	s_xor_b32 exec_lo, exec_lo, s1
	s_cbranch_execz .LBB0_12
; %bb.11:
	v_mad_co_u64_u32 v[2:3], null, s8, v36, 0
	v_mad_co_u64_u32 v[4:5], null, s8, v25, 0
	v_add_nc_u32_e32 v8, 0xaa, v36
	v_mad_co_u64_u32 v[11:12], null, s8, v32, 0
	v_add_nc_u32_e32 v22, 0x1a9, v36
	v_mov_b32_e32 v0, v3
	v_mad_co_u64_u32 v[39:40], null, s8, v31, 0
	v_mov_b32_e32 v3, v5
	v_mad_co_u64_u32 v[9:10], null, s8, v8, 0
	s_delay_alu instid0(VALU_DEP_4) | instskip(NEXT) | instid1(VALU_DEP_3)
	v_mad_co_u64_u32 v[5:6], null, s9, v36, v[0:1]
	v_mad_co_u64_u32 v[6:7], null, s9, v25, v[3:4]
	v_add_co_u32 v7, s0, s10, v20
	s_delay_alu instid0(VALU_DEP_4) | instskip(SKIP_3) | instid1(VALU_DEP_4)
	v_mov_b32_e32 v0, v10
	v_mad_co_u64_u32 v[52:53], null, s8, v33, 0
	v_mov_b32_e32 v3, v5
	v_mov_b32_e32 v5, v6
	v_mad_co_u64_u32 v[13:14], null, s9, v8, v[0:1]
	v_add_nc_u32_e32 v6, 0x154, v36
	v_dual_mov_b32 v0, v12 :: v_dual_add_nc_u32 v41, 0x1fe, v36
	v_lshlrev_b64_e32 v[2:3], 2, v[2:3]
	s_wait_alu 0xf1ff
	v_add_co_ci_u32_e64 v8, s0, s11, v21, s0
	v_mov_b32_e32 v10, v13
	v_mad_co_u64_u32 v[13:14], null, s8, v6, 0
	v_mad_co_u64_u32 v[15:16], null, s9, v32, v[0:1]
	;; [unrolled: 1-line block ×4, first 2 shown]
	s_delay_alu instid0(VALU_DEP_4) | instskip(SKIP_3) | instid1(VALU_DEP_4)
	v_mov_b32_e32 v0, v14
	v_lshlrev_b64_e32 v[4:5], 2, v[4:5]
	v_mov_b32_e32 v12, v15
	v_add_co_u32 v2, s0, v7, v2
	v_mad_co_u64_u32 v[14:15], null, s9, v6, v[0:1]
	v_mov_b32_e32 v0, v17
	s_wait_alu 0xf1ff
	v_add_co_ci_u32_e64 v3, s0, v8, v3, s0
	v_add_co_u32 v4, s0, v7, v4
	s_delay_alu instid0(VALU_DEP_3)
	v_mad_co_u64_u32 v[22:23], null, s9, v22, v[0:1]
	v_mov_b32_e32 v0, v19
	v_lshlrev_b64_e32 v[11:12], 2, v[11:12]
	s_wait_alu 0xf1ff
	v_add_co_ci_u32_e64 v5, s0, v8, v5, s0
	v_lshlrev_b64_e32 v[13:14], 2, v[13:14]
	v_mad_co_u64_u32 v[41:42], null, s9, v41, v[0:1]
	v_dual_mov_b32 v17, v22 :: v_dual_mov_b32 v0, v40
	v_add_nc_u32_e32 v6, 0xbb, v36
	s_delay_alu instid0(VALU_DEP_2) | instskip(NEXT) | instid1(VALU_DEP_4)
	v_lshlrev_b64_e32 v[15:16], 2, v[16:17]
	v_mov_b32_e32 v19, v41
	v_lshlrev_b64_e32 v[9:10], 2, v[9:10]
	v_mad_co_u64_u32 v[22:23], null, s9, v31, v[0:1]
	v_mad_co_u64_u32 v[41:42], null, s8, v24, 0
	s_delay_alu instid0(VALU_DEP_3) | instskip(SKIP_1) | instid1(VALU_DEP_4)
	v_add_co_u32 v9, s0, v7, v9
	s_wait_alu 0xf1ff
	v_add_co_ci_u32_e64 v10, s0, v8, v10, s0
	v_add_co_u32 v11, s0, v7, v11
	s_wait_alu 0xf1ff
	v_add_co_ci_u32_e64 v12, s0, v8, v12, s0
	;; [unrolled: 3-line block ×4, first 2 shown]
	v_mov_b32_e32 v40, v22
	v_lshlrev_b64_e32 v[15:16], 2, v[18:19]
	v_mov_b32_e32 v0, v42
	v_mad_co_u64_u32 v[17:18], null, s8, v6, 0
	s_delay_alu instid0(VALU_DEP_4) | instskip(NEXT) | instid1(VALU_DEP_3)
	v_lshlrev_b64_e32 v[22:23], 2, v[39:40]
	v_mad_co_u64_u32 v[39:40], null, s9, v24, v[0:1]
	v_add_co_u32 v45, s0, v7, v15
	s_delay_alu instid0(VALU_DEP_4)
	v_mov_b32_e32 v0, v18
	s_wait_alu 0xf1ff
	v_add_co_ci_u32_e64 v46, s0, v8, v16, s0
	v_add_co_u32 v18, s0, v7, v22
	s_wait_alu 0xf1ff
	v_add_co_ci_u32_e64 v19, s0, v8, v23, s0
	v_mov_b32_e32 v42, v39
	v_mad_co_u64_u32 v[39:40], null, s9, v6, v[0:1]
	s_clause 0x7
	global_load_b32 v2, v[2:3], off
	global_load_b32 v0, v[4:5], off
	;; [unrolled: 1-line block ×8, first 2 shown]
	v_add_nc_u32_e32 v16, 0x110, v36
	v_mad_co_u64_u32 v[10:11], null, s8, v35, 0
	v_add_nc_u32_e32 v23, 0x1ba, v36
	v_add_nc_u32_e32 v43, 0x20f, v36
	s_delay_alu instid0(VALU_DEP_4) | instskip(SKIP_3) | instid1(VALU_DEP_4)
	v_mad_co_u64_u32 v[47:48], null, s8, v16, 0
	v_mov_b32_e32 v18, v39
	v_lshlrev_b64_e32 v[5:6], 2, v[41:42]
	v_mad_co_u64_u32 v[45:46], null, s8, v28, 0
	v_mov_b32_e32 v9, v48
	s_delay_alu instid0(VALU_DEP_3) | instskip(SKIP_1) | instid1(VALU_DEP_4)
	v_add_co_u32 v5, s0, v7, v5
	s_wait_alu 0xf1ff
	v_add_co_ci_u32_e64 v6, s0, v8, v6, s0
	s_delay_alu instid0(VALU_DEP_3)
	v_mad_co_u64_u32 v[12:13], null, s9, v16, v[9:10]
	v_mad_co_u64_u32 v[13:14], null, s8, v23, 0
	v_mov_b32_e32 v9, v11
	v_lshlrev_b64_e32 v[16:17], 2, v[17:18]
	v_mad_co_u64_u32 v[18:19], null, s8, v43, 0
	v_mov_b32_e32 v48, v12
	s_delay_alu instid0(VALU_DEP_4) | instskip(SKIP_2) | instid1(VALU_DEP_4)
	v_mad_co_u64_u32 v[11:12], null, s9, v35, v[9:10]
	v_mov_b32_e32 v9, v14
	v_add_co_u32 v16, s0, v7, v16
	v_lshlrev_b64_e32 v[39:40], 2, v[47:48]
	s_wait_alu 0xf1ff
	v_add_co_ci_u32_e64 v17, s0, v8, v17, s0
	v_mad_co_u64_u32 v[41:42], null, s9, v23, v[9:10]
	v_lshlrev_b64_e32 v[10:11], 2, v[10:11]
	v_mov_b32_e32 v9, v19
	v_add_co_u32 v39, s0, v7, v39
	s_wait_alu 0xf1ff
	v_add_co_ci_u32_e64 v40, s0, v8, v40, s0
	s_delay_alu instid0(VALU_DEP_3) | instskip(SKIP_4) | instid1(VALU_DEP_3)
	v_mad_co_u64_u32 v[42:43], null, s9, v43, v[9:10]
	v_mov_b32_e32 v14, v41
	v_add_co_u32 v9, s0, v7, v10
	s_wait_alu 0xf1ff
	v_add_co_ci_u32_e64 v10, s0, v8, v11, s0
	v_lshlrev_b64_e32 v[11:12], 2, v[13:14]
	v_mov_b32_e32 v13, v46
	v_mov_b32_e32 v19, v42
	v_mad_co_u64_u32 v[41:42], null, s8, v38, 0
	v_add_nc_u32_e32 v23, 0xcc, v36
	s_delay_alu instid0(VALU_DEP_4) | instskip(NEXT) | instid1(VALU_DEP_4)
	v_mad_co_u64_u32 v[13:14], null, s9, v28, v[13:14]
	v_lshlrev_b64_e32 v[18:19], 2, v[18:19]
	v_add_nc_u32_e32 v43, 0x121, v36
	s_delay_alu instid0(VALU_DEP_4)
	v_mad_co_u64_u32 v[47:48], null, s8, v23, 0
	v_mov_b32_e32 v14, v42
	v_add_co_u32 v11, s0, v7, v11
	v_mov_b32_e32 v46, v13
	s_wait_alu 0xf1ff
	v_add_co_ci_u32_e64 v12, s0, v8, v12, s0
	v_add_co_u32 v18, s0, v7, v18
	v_mad_co_u64_u32 v[49:50], null, s8, v43, 0
	s_wait_alu 0xf1ff
	v_add_co_ci_u32_e64 v19, s0, v8, v19, s0
	s_clause 0x5
	global_load_b32 v5, v[5:6], off
	global_load_b32 v44, v[16:17], off
	;; [unrolled: 1-line block ×6, first 2 shown]
	v_lshlrev_b64_e32 v[9:10], 2, v[45:46]
	v_mad_co_u64_u32 v[16:17], null, s8, v30, 0
	s_wait_loadcnt 0x9
	v_mad_co_u64_u32 v[13:14], null, s9, v38, v[14:15]
	v_mov_b32_e32 v14, v48
	s_wait_loadcnt 0x8
	v_lshrrev_b32_e32 v82, 16, v83
	s_delay_alu instid0(VALU_DEP_2) | instskip(NEXT) | instid1(VALU_DEP_4)
	v_mad_co_u64_u32 v[11:12], null, s9, v23, v[14:15]
	v_mov_b32_e32 v42, v13
	v_mov_b32_e32 v12, v50
	v_add_co_u32 v13, s0, v7, v9
	v_add_nc_u32_e32 v23, 0x1cb, v36
	s_wait_alu 0xf1ff
	v_add_co_ci_u32_e64 v14, s0, v8, v10, s0
	v_mov_b32_e32 v48, v11
	v_mad_co_u64_u32 v[11:12], null, s9, v43, v[12:13]
	v_or_b32_e32 v43, 0x220, v36
	v_mad_co_u64_u32 v[18:19], null, s8, v23, 0
	v_lshlrev_b64_e32 v[9:10], 2, v[41:42]
	s_delay_alu instid0(VALU_DEP_3) | instskip(SKIP_1) | instid1(VALU_DEP_3)
	v_mad_co_u64_u32 v[45:46], null, s8, v43, 0
	v_dual_mov_b32 v50, v11 :: v_dual_mov_b32 v11, v17
	v_add_co_u32 v41, s0, v7, v9
	s_wait_alu 0xf1ff
	s_delay_alu instid0(VALU_DEP_4) | instskip(NEXT) | instid1(VALU_DEP_3)
	v_add_co_ci_u32_e64 v42, s0, v8, v10, s0
	v_mad_co_u64_u32 v[11:12], null, s9, v30, v[11:12]
	v_dual_mov_b32 v12, v19 :: v_dual_mov_b32 v19, v46
	v_lshlrev_b64_e32 v[9:10], 2, v[47:48]
	v_lshlrev_b64_e32 v[47:48], 2, v[49:50]
	s_delay_alu instid0(VALU_DEP_4) | instskip(NEXT) | instid1(VALU_DEP_4)
	v_mov_b32_e32 v17, v11
	v_mad_co_u64_u32 v[11:12], null, s9, v23, v[12:13]
	v_mad_co_u64_u32 v[49:50], null, s9, v43, v[19:20]
	;; [unrolled: 1-line block ×3, first 2 shown]
	v_add_co_u32 v9, s0, v7, v9
	s_delay_alu instid0(VALU_DEP_4)
	v_mov_b32_e32 v19, v11
	v_lshlrev_b64_e32 v[16:17], 2, v[16:17]
	v_mov_b32_e32 v46, v49
	s_wait_alu 0xf1ff
	v_add_co_ci_u32_e64 v10, s0, v8, v10, s0
	v_mov_b32_e32 v11, v51
	v_add_nc_u32_e32 v23, 0x132, v36
	v_add_co_u32 v47, s0, v7, v47
	v_lshlrev_b64_e32 v[18:19], 2, v[18:19]
	s_delay_alu instid0(VALU_DEP_4)
	v_mad_co_u64_u32 v[11:12], null, s9, v27, v[11:12]
	s_wait_alu 0xf1ff
	v_add_co_ci_u32_e64 v48, s0, v8, v48, s0
	v_add_co_u32 v16, s0, v7, v16
	v_lshlrev_b64_e32 v[45:46], 2, v[45:46]
	v_dual_mov_b32 v12, v53 :: v_dual_add_nc_u32 v43, 0xdd, v36
	v_mad_co_u64_u32 v[56:57], null, s8, v23, 0
	s_wait_alu 0xf1ff
	v_add_co_ci_u32_e64 v17, s0, v8, v17, s0
	v_add_co_u32 v18, s0, v7, v18
	s_wait_alu 0xf1ff
	v_add_co_ci_u32_e64 v19, s0, v8, v19, s0
	v_mad_co_u64_u32 v[58:59], null, s8, v43, 0
	v_add_co_u32 v54, s0, v7, v45
	v_mov_b32_e32 v51, v11
	v_mad_co_u64_u32 v[11:12], null, s9, v33, v[12:13]
	v_add_nc_u32_e32 v49, 0x187, v36
	s_wait_alu 0xf1ff
	v_add_co_ci_u32_e64 v55, s0, v8, v46, s0
	s_clause 0x4
	global_load_b32 v46, v[9:10], off
	global_load_b32 v86, v[47:48], off
	;; [unrolled: 1-line block ×5, first 2 shown]
	v_mov_b32_e32 v10, v57
	v_mad_co_u64_u32 v[16:17], null, s8, v49, 0
	v_dual_mov_b32 v12, v59 :: v_dual_mov_b32 v53, v11
	s_delay_alu instid0(VALU_DEP_3) | instskip(SKIP_1) | instid1(VALU_DEP_3)
	v_mad_co_u64_u32 v[10:11], null, s9, v23, v[10:11]
	v_mad_co_u64_u32 v[47:48], null, s8, v34, 0
	;; [unrolled: 1-line block ×3, first 2 shown]
	v_dual_mov_b32 v12, v17 :: v_dual_add_nc_u32 v23, 0x231, v36
	s_delay_alu instid0(VALU_DEP_4) | instskip(SKIP_2) | instid1(VALU_DEP_4)
	v_mov_b32_e32 v57, v10
	v_lshlrev_b64_e32 v[18:19], 2, v[50:51]
	v_dual_mov_b32 v10, v48 :: v_dual_add_nc_u32 v43, 0x143, v36
	v_mad_co_u64_u32 v[49:50], null, s9, v49, v[12:13]
	v_mad_co_u64_u32 v[50:51], null, s8, v23, 0
	v_mov_b32_e32 v59, v11
	v_lshlrev_b64_e32 v[11:12], 2, v[56:57]
	v_mad_co_u64_u32 v[54:55], null, s8, v26, 0
	v_mov_b32_e32 v17, v49
	v_lshlrev_b64_e32 v[52:53], 2, v[52:53]
	s_wait_loadcnt 0x6
	v_lshrrev_b32_e32 v85, 16, v84
	v_mad_co_u64_u32 v[48:49], null, s9, v34, v[10:11]
	v_mov_b32_e32 v10, v51
	v_add_co_u32 v11, s0, v7, v11
	v_lshlrev_b64_e32 v[16:17], 2, v[16:17]
	s_wait_alu 0xf1ff
	v_add_co_ci_u32_e64 v12, s0, v8, v12, s0
	s_delay_alu instid0(VALU_DEP_3) | instskip(SKIP_3) | instid1(VALU_DEP_3)
	v_mad_co_u64_u32 v[56:57], null, s9, v23, v[10:11]
	v_dual_mov_b32 v10, v55 :: v_dual_add_nc_u32 v23, 0x99, v36
	v_lshlrev_b64_e32 v[47:48], 2, v[47:48]
	v_add_co_u32 v16, s0, v7, v16
	v_mad_co_u64_u32 v[60:61], null, s9, v26, v[10:11]
	s_delay_alu instid0(VALU_DEP_4) | instskip(SKIP_4) | instid1(VALU_DEP_3)
	v_mad_co_u64_u32 v[61:62], null, s8, v23, 0
	v_mov_b32_e32 v51, v56
	v_mad_co_u64_u32 v[56:57], null, s8, v37, 0
	s_wait_alu 0xf1ff
	v_add_co_ci_u32_e64 v17, s0, v8, v17, s0
	v_lshlrev_b64_e32 v[49:50], 2, v[50:51]
	v_mov_b32_e32 v10, v62
	v_add_co_u32 v47, s0, v7, v47
	v_mov_b32_e32 v55, v60
	s_wait_alu 0xf1ff
	v_add_co_ci_u32_e64 v48, s0, v8, v48, s0
	v_mad_co_u64_u32 v[62:63], null, s9, v23, v[10:11]
	v_mad_co_u64_u32 v[63:64], null, s8, v43, 0
	v_dual_mov_b32 v10, v57 :: v_dual_add_nc_u32 v23, 0x198, v36
	v_add_co_u32 v65, s0, v7, v49
	s_wait_alu 0xf1ff
	v_add_co_ci_u32_e64 v66, s0, v8, v50, s0
	v_lshlrev_b64_e32 v[49:50], 2, v[54:55]
	v_mad_co_u64_u32 v[54:55], null, s9, v37, v[10:11]
	v_mad_co_u64_u32 v[67:68], null, s8, v23, 0
	v_mov_b32_e32 v10, v64
	s_delay_alu instid0(VALU_DEP_4)
	v_add_co_u32 v69, s0, v7, v49
	s_wait_alu 0xf1ff
	v_add_co_ci_u32_e64 v70, s0, v8, v50, s0
	v_mov_b32_e32 v57, v54
	v_mad_co_u64_u32 v[54:55], null, s9, v43, v[10:11]
	v_mov_b32_e32 v10, v68
	v_lshlrev_b64_e32 v[49:50], 2, v[61:62]
	v_add_nc_u32_e32 v43, 0x242, v36
	v_mad_co_u64_u32 v[60:61], null, s8, v29, 0
	s_delay_alu instid0(VALU_DEP_4) | instskip(NEXT) | instid1(VALU_DEP_3)
	v_mad_co_u64_u32 v[71:72], null, s9, v23, v[10:11]
	v_mad_co_u64_u32 v[72:73], null, s8, v43, 0
	v_add_co_u32 v74, s0, v7, v49
	s_delay_alu instid0(VALU_DEP_4)
	v_mov_b32_e32 v10, v61
	s_wait_alu 0xf1ff
	v_add_co_ci_u32_e64 v75, s0, v8, v50, s0
	v_lshlrev_b64_e32 v[49:50], 2, v[56:57]
	v_mov_b32_e32 v64, v54
	v_mad_co_u64_u32 v[54:55], null, s9, v29, v[10:11]
	v_mov_b32_e32 v10, v73
	v_mov_b32_e32 v68, v71
	v_add_co_u32 v55, s0, v7, v49
	s_wait_alu 0xf1ff
	v_add_co_ci_u32_e64 v56, s0, v8, v50, s0
	v_lshlrev_b64_e32 v[49:50], 2, v[63:64]
	v_mad_co_u64_u32 v[62:63], null, s9, v43, v[10:11]
	v_mov_b32_e32 v61, v54
	v_lshlrev_b64_e32 v[63:64], 2, v[67:68]
	s_delay_alu instid0(VALU_DEP_4)
	v_add_co_u32 v67, s0, v7, v49
	s_wait_alu 0xf1ff
	v_add_co_ci_u32_e64 v68, s0, v8, v50, s0
	v_mov_b32_e32 v73, v62
	v_lshlrev_b64_e32 v[49:50], 2, v[60:61]
	v_add_co_u32 v60, s0, v7, v63
	s_wait_alu 0xf1ff
	v_add_co_ci_u32_e64 v61, s0, v8, v64, s0
	v_lshlrev_b64_e32 v[62:63], 2, v[72:73]
	s_delay_alu instid0(VALU_DEP_4) | instskip(SKIP_2) | instid1(VALU_DEP_3)
	v_add_co_u32 v71, s0, v7, v49
	s_wait_alu 0xf1ff
	v_add_co_ci_u32_e64 v72, s0, v8, v50, s0
	v_add_co_u32 v50, s0, v7, v62
	s_wait_alu 0xf1ff
	v_add_co_ci_u32_e64 v51, s0, v8, v63, s0
	s_clause 0xa
	global_load_b32 v43, v[11:12], off
	global_load_b32 v49, v[16:17], off
	;; [unrolled: 1-line block ×11, first 2 shown]
	v_add_co_u32 v10, s0, v7, v18
	v_lshlrev_b64_e32 v[17:18], 2, v[58:59]
	s_wait_alu 0xf1ff
	v_add_co_ci_u32_e64 v11, s0, v8, v19, s0
	v_add_co_u32 v50, s0, v7, v52
	s_wait_alu 0xf1ff
	v_add_co_ci_u32_e64 v51, s0, v8, v53, s0
	v_add_co_u32 v7, s0, v7, v17
	s_wait_alu 0xf1ff
	v_add_co_ci_u32_e64 v8, s0, v8, v18, s0
	s_clause 0x4
	global_load_b32 v18, v[13:14], off
	global_load_b32 v68, v[41:42], off
	;; [unrolled: 1-line block ×5, first 2 shown]
	v_perm_b32 v19, v84, v39, 0x5040100
	s_wait_loadcnt 0x15
	v_perm_b32 v51, v6, v39, 0x7060302
	v_dual_mov_b32 v39, v31 :: v_dual_mov_b32 v42, v27
	v_mov_b32_e32 v41, v28
	s_wait_loadcnt 0x11
	v_lshrrev_b32_e32 v81, 16, v87
	v_perm_b32 v13, v87, v86, 0x5040100
	s_wait_loadcnt 0x10
	v_perm_b32 v14, v9, v86, 0x7060302
	v_perm_b32 v86, v83, v79, 0x5040100
	;; [unrolled: 1-line block ×3, first 2 shown]
	s_wait_loadcnt 0xd
	v_lshrrev_b32_e32 v80, 16, v54
	v_perm_b32 v10, v54, v43, 0x5040100
	s_wait_loadcnt 0xc
	v_perm_b32 v11, v76, v43, 0x7060302
	v_mov_b32_e32 v43, v26
	s_wait_loadcnt 0x6
	v_lshrrev_b32_e32 v78, 16, v56
	v_perm_b32 v7, v56, v55, 0x5040100
	s_wait_loadcnt 0x5
	v_perm_b32 v8, v77, v55, 0x7060302
.LBB0_12:
	s_or_b32 exec_lo, exec_lo, s1
	v_mul_hi_u32 v52, 0xaaaaaaab, v1
	v_lshrrev_b32_e32 v92, 16, v22
	v_perm_b32 v91, v22, v15, 0x5040100
	v_perm_b32 v98, v0, v15, 0x7060302
	v_add_f16_e32 v53, v4, v0
	v_perm_b32 v99, v44, v40, 0x5040100
	v_lshrrev_b32_e32 v93, 16, v44
	v_pk_add_f16 v15, v86, v91
	v_lshrrev_b32_e32 v22, 1, v52
	v_sub_f16_e32 v52, v92, v82
	v_add_f16_e32 v55, v6, v5
	v_perm_b32 v101, v5, v40, 0x7060302
	v_lshrrev_b32_e32 v54, 16, v15
	v_lshl_add_u32 v22, v22, 1, v22
	v_alignbit_b32 v61, v53, v15, 16
	v_sub_f16_e32 v58, v93, v85
	v_perm_b32 v103, v46, v45, 0x5040100
	v_add_f16_e32 v54, v53, v54
	v_sub_nc_u32_e32 v1, v1, v22
	v_pk_add_f16 v22, v98, v87 neg_lo:[0,1] neg_hi:[0,1]
	v_sub_f16_e32 v53, v53, v15
	v_pk_add_f16 v61, v15, v61 neg_lo:[0,1] neg_hi:[0,1]
	v_add_f16_e32 v15, v54, v15
	v_mul_u32_u24_e32 v1, 0x253, v1
	v_pack_b32_f16 v62, v52, v22
	v_add_f16_e32 v63, v52, v22
	v_lshrrev_b32_e32 v64, 16, v22
	v_mul_f16_e32 v54, 0xba52, v53
	v_lshrrev_b32_e32 v94, 16, v46
	v_pk_add_f16 v22, v22, v62 neg_lo:[0,1] neg_hi:[0,1]
	v_pk_mul_f16 v62, 0x39e02b26, v61
	v_sub_f16_e32 v52, v52, v64
	v_add_f16_e32 v63, v64, v63
	v_add_f16_e32 v64, v15, v2
	v_pk_mul_f16 v65, 0x3574b846, v22
	v_alignbit_b32 v54, v54, v62, 16
	v_mul_f16_e32 v52, 0x3b00, v52
	v_mul_f16_e32 v66, 0x370e, v63
	v_fmamk_f16 v15, v15, 0xbcab, v64
	v_lshrrev_b32_e32 v67, 16, v65
	v_pk_fma_f16 v54, 0x39e02b26, v61, v54 neg_lo:[0,1,0] neg_hi:[0,1,0]
	v_pk_fma_f16 v52, 0x3574b846, v22, v52 op_sel_hi:[1,1,0] neg_lo:[0,1,0] neg_hi:[0,1,1]
	v_fmamk_f16 v53, v53, 0x3a52, v62
	v_lshlrev_b32_e32 v22, 1, v1
	v_add_f16_e32 v61, v67, v65
	v_pk_add_f16 v54, v54, v15 op_sel_hi:[1,0]
	v_pk_add_f16 v52, v52, v66 op_sel_hi:[1,0]
	v_add_f16_e32 v65, v53, v15
	v_add_nc_u32_e32 v1, 0, v22
	v_fmac_f16_e32 v61, 0x370e, v63
	v_pk_add_f16 v63, v19, v99
	v_pk_add_f16 v53, v54, v52
	v_pk_add_f16 v52, v54, v52 neg_lo:[0,1] neg_hi:[0,1]
	v_mad_u32_u24 v15, v36, 14, v1
	v_add_f16_e32 v44, v65, v61
	v_sub_f16_e32 v40, v65, v61
	s_wait_loadcnt 0x3
	v_perm_b32 v105, v68, v45, 0x7060302
	v_bfi_b32 v54, 0xffff, v53, v52
	v_alignbit_b32 v53, v52, v53, 16
	v_pack_b32_f16 v52, v64, v44
	v_lshrrev_b32_e32 v44, 16, v63
	v_pk_add_f16 v64, v101, v51 neg_lo:[0,1] neg_hi:[0,1]
	v_add_f16_e32 v56, v9, v68
	ds_store_b96 v15, v[52:54]
	ds_store_b16 v15, v40 offset:12
	v_add_f16_e32 v40, v55, v44
	v_alignbit_b32 v44, v55, v63, 16
	v_pack_b32_f16 v52, v58, v64
	v_add_f16_e32 v53, v58, v64
	v_lshrrev_b32_e32 v54, 16, v64
	v_sub_f16_e32 v55, v55, v63
	v_pk_add_f16 v44, v63, v44 neg_lo:[0,1] neg_hi:[0,1]
	v_pk_add_f16 v52, v64, v52 neg_lo:[0,1] neg_hi:[0,1]
	v_add_f16_e32 v40, v40, v63
	v_add_f16_e32 v53, v54, v53
	v_mul_f16_e32 v63, 0xba52, v55
	v_pk_mul_f16 v64, 0x39e02b26, v44
	v_sub_f16_e32 v54, v58, v54
	v_pk_mul_f16 v65, 0x3574b846, v52
	v_add_f16_e32 v58, v40, v3
	v_mul_f16_e32 v66, 0x370e, v53
	v_alignbit_b32 v63, v63, v64, 16
	v_mul_f16_e32 v54, 0x3b00, v54
	v_lshrrev_b32_e32 v67, 16, v65
	v_fmamk_f16 v40, v40, 0xbcab, v58
	v_fmamk_f16 v55, v55, 0x3a52, v64
	v_pk_fma_f16 v44, 0x39e02b26, v44, v63 neg_lo:[0,1,0] neg_hi:[0,1,0]
	v_pk_fma_f16 v52, 0x3574b846, v52, v54 op_sel_hi:[1,1,0] neg_lo:[0,1,0] neg_hi:[0,1,1]
	v_add_f16_e32 v63, v67, v65
	v_sub_f16_e32 v59, v94, v81
	v_add_f16_e32 v46, v55, v40
	v_pk_add_f16 v40, v44, v40 op_sel_hi:[1,0]
	v_pk_add_f16 v44, v52, v66 op_sel_hi:[1,0]
	v_pk_add_f16 v52, v13, v103
	v_fmac_f16_e32 v63, 0x370e, v53
	v_pk_add_f16 v55, v105, v14 neg_lo:[0,1] neg_hi:[0,1]
	s_wait_loadcnt 0x0
	v_perm_b32 v106, v50, v49, 0x5040100
	v_pk_add_f16 v45, v40, v44
	v_lshrrev_b32_e32 v54, 16, v52
	v_add_f16_e32 v53, v46, v63
	v_pk_add_f16 v40, v40, v44 neg_lo:[0,1] neg_hi:[0,1]
	v_alignbit_b32 v44, v56, v52, 16
	v_sub_f16_e32 v63, v46, v63
	v_add_f16_e32 v46, v56, v54
	v_pack_b32_f16 v54, v59, v55
	v_sub_f16_e32 v56, v56, v52
	v_pk_add_f16 v44, v52, v44 neg_lo:[0,1] neg_hi:[0,1]
	v_lshrrev_b32_e32 v65, 16, v55
	v_add_f16_e32 v64, v59, v55
	v_pk_add_f16 v54, v55, v54 neg_lo:[0,1] neg_hi:[0,1]
	v_add_f16_e32 v46, v46, v52
	v_mul_f16_e32 v52, 0xba52, v56
	v_pk_mul_f16 v55, 0x39e02b26, v44
	v_sub_f16_e32 v59, v59, v65
	v_pk_mul_f16 v66, 0x3574b846, v54
	v_add_f16_e32 v64, v65, v64
	v_add_f16_e32 v65, v46, v18
	v_alignbit_b32 v52, v52, v55, 16
	v_mul_f16_e32 v59, 0x3b00, v59
	v_lshrrev_b32_e32 v70, 16, v66
	v_mul_f16_e32 v67, 0x370e, v64
	v_fmamk_f16 v69, v46, 0xbcab, v65
	v_pk_fma_f16 v44, 0x39e02b26, v44, v52 neg_lo:[0,1,0] neg_hi:[0,1,0]
	v_pk_fma_f16 v52, 0x3574b846, v54, v59 op_sel_hi:[1,1,0] neg_lo:[0,1,0] neg_hi:[0,1,1]
	v_fmamk_f16 v54, v56, 0x3a52, v55
	v_add_f16_e32 v55, v70, v66
	v_bfi_b32 v46, 0xffff, v45, v40
	v_pk_add_f16 v56, v44, v69 op_sel_hi:[1,0]
	v_pk_add_f16 v52, v52, v67 op_sel_hi:[1,0]
	v_alignbit_b32 v45, v40, v45, 16
	v_add_f16_e32 v40, v54, v69
	v_fmac_f16_e32 v55, 0x370e, v64
	v_lshrrev_b32_e32 v95, 16, v50
	v_mad_i32_i24 v84, v39, 14, v1
	v_pack_b32_f16 v44, v58, v53
	v_pk_add_f16 v53, v56, v52
	v_pk_add_f16 v52, v56, v52 neg_lo:[0,1] neg_hi:[0,1]
	v_add_f16_e32 v50, v40, v55
	v_sub_f16_e32 v40, v40, v55
	v_pk_add_f16 v55, v10, v106
	v_add_f16_e32 v57, v76, v23
	v_mad_i32_i24 v89, v41, 14, v1
	v_bfi_b32 v54, 0xffff, v53, v52
	v_alignbit_b32 v53, v52, v53, 16
	v_perm_b32 v107, v23, v49, 0x7060302
	v_pack_b32_f16 v52, v65, v50
	ds_store_b96 v84, v[44:46]
	ds_store_b16 v84, v63 offset:12
	v_lshrrev_b32_e32 v44, 16, v55
	v_sub_f16_e32 v60, v95, v80
	v_pk_add_f16 v45, v107, v11 neg_lo:[0,1] neg_hi:[0,1]
	ds_store_b96 v89, v[52:54]
	ds_store_b16 v89, v40 offset:12
	v_sub_f16_e32 v50, v57, v55
	v_add_f16_e32 v40, v57, v44
	v_alignbit_b32 v44, v57, v55, 16
	v_pack_b32_f16 v46, v60, v45
	v_lshrrev_b32_e32 v49, 16, v45
	v_add_f16_e32 v52, v60, v45
	v_add_f16_e32 v40, v40, v55
	v_pk_add_f16 v44, v55, v44 neg_lo:[0,1] neg_hi:[0,1]
	v_pk_add_f16 v45, v45, v46 neg_lo:[0,1] neg_hi:[0,1]
	v_sub_f16_e32 v46, v60, v49
	v_add_f16_e32 v49, v49, v52
	v_mul_f16_e32 v52, 0xba52, v50
	v_pk_mul_f16 v53, 0x39e02b26, v44
	v_add_f16_e32 v55, v40, v17
	v_lshrrev_b32_e32 v108, 16, v48
	v_pk_mul_f16 v54, 0x3574b846, v45
	v_mul_f16_e32 v46, 0x3b00, v46
	v_alignbit_b32 v52, v52, v53, 16
	v_fmamk_f16 v40, v40, 0xbcab, v55
	v_fmamk_f16 v50, v50, 0x3a52, v53
	v_perm_b32 v109, v48, v47, 0x5040100
	v_perm_b32 v110, v16, v47, 0x7060302
	v_add_f16_e32 v62, v77, v16
	v_sub_f16_e32 v61, v108, v78
	v_mul_f16_e32 v56, 0x370e, v49
	v_lshrrev_b32_e32 v57, 16, v54
	v_pk_fma_f16 v44, 0x39e02b26, v44, v52 neg_lo:[0,1,0] neg_hi:[0,1,0]
	v_pk_fma_f16 v45, 0x3574b846, v45, v46 op_sel_hi:[1,1,0] neg_lo:[0,1,0] neg_hi:[0,1,1]
	v_add_f16_e32 v46, v50, v40
	v_pk_add_f16 v50, v7, v109
	v_pk_add_f16 v47, v110, v8 neg_lo:[0,1] neg_hi:[0,1]
	v_add_f16_e32 v48, v57, v54
	v_pk_add_f16 v40, v44, v40 op_sel_hi:[1,0]
	v_pk_add_f16 v44, v45, v56 op_sel_hi:[1,0]
	v_lshrrev_b32_e32 v45, 16, v50
	v_alignbit_b32 v52, v62, v50, 16
	v_pack_b32_f16 v54, v61, v47
	v_sub_f16_e32 v56, v62, v50
	v_add_f16_e32 v57, v61, v47
	v_add_f16_e32 v45, v62, v45
	v_pk_add_f16 v52, v50, v52 neg_lo:[0,1] neg_hi:[0,1]
	v_lshrrev_b32_e32 v58, 16, v47
	v_pk_add_f16 v47, v47, v54 neg_lo:[0,1] neg_hi:[0,1]
	v_mul_f16_e32 v54, 0xba52, v56
	v_add_f16_e32 v45, v45, v50
	v_pk_mul_f16 v50, 0x39e02b26, v52
	v_sub_f16_e32 v59, v61, v58
	v_pk_mul_f16 v60, 0x3574b846, v47
	v_add_f16_e32 v57, v58, v57
	v_add_f16_e32 v58, v45, v12
	v_alignbit_b32 v54, v54, v50, 16
	v_mul_f16_e32 v59, 0x3b00, v59
	v_lshrrev_b32_e32 v62, 16, v60
	v_pk_add_f16 v53, v40, v44
	v_mul_f16_e32 v61, 0x370e, v57
	v_fmamk_f16 v45, v45, 0xbcab, v58
	v_pk_fma_f16 v52, 0x39e02b26, v52, v54 neg_lo:[0,1,0] neg_hi:[0,1,0]
	v_pk_fma_f16 v47, 0x3574b846, v47, v59 op_sel_hi:[1,1,0] neg_lo:[0,1,0] neg_hi:[0,1,1]
	v_pk_add_f16 v40, v40, v44 neg_lo:[0,1] neg_hi:[0,1]
	v_fmamk_f16 v44, v56, 0x3a52, v50
	v_add_f16_e32 v50, v62, v60
	v_fmac_f16_e32 v48, 0x370e, v49
	v_pk_add_f16 v52, v52, v45 op_sel_hi:[1,0]
	v_pk_add_f16 v47, v47, v61 op_sel_hi:[1,0]
	v_add_f16_e32 v56, v44, v45
	v_fmac_f16_e32 v50, 0x370e, v57
	v_add_f16_e32 v49, v46, v48
	v_sub_f16_e32 v54, v46, v48
	v_bfi_b32 v46, 0xffff, v53, v40
	v_pk_add_f16 v48, v52, v47
	v_pk_add_f16 v47, v52, v47 neg_lo:[0,1] neg_hi:[0,1]
	v_alignbit_b32 v45, v40, v53, 16
	v_add_f16_e32 v40, v56, v50
	v_mad_i32_i24 v90, v42, 14, v1
	v_pack_b32_f16 v44, v55, v49
	v_bfi_b32 v49, 0xffff, v48, v47
	v_alignbit_b32 v48, v47, v48, 16
	v_pack_b32_f16 v47, v58, v40
	v_lshlrev_b32_e32 v40, 1, v36
	v_mad_i32_i24 v104, v43, 14, v1
	v_sub_f16_e32 v59, v56, v50
	ds_store_b96 v90, v[44:46]
	ds_store_b16 v90, v54 offset:12
	ds_store_b96 v104, v[47:49]
	ds_store_b16 v104, v59 offset:12
	v_add_nc_u32_e32 v44, v1, v40
	v_add3_u32 v40, 0, v40, v22
	global_wb scope:SCOPE_SE
	s_wait_dscnt 0x0
	s_barrier_signal -1
	s_barrier_wait -1
	global_inv scope:SCOPE_SE
	ds_load_u16 v97, v44
	ds_load_u16 v73, v40 offset:70
	ds_load_u16 v46, v40 offset:104
	;; [unrolled: 1-line block ×3, first 2 shown]
	v_lshl_add_u32 v45, v39, 1, v1
	ds_load_u16 v70, v40 offset:280
	ds_load_u16 v47, v40 offset:244
	;; [unrolled: 1-line block ×28, first 2 shown]
	ds_load_u16 v102, v45
	ds_load_u16 v100, v40 offset:1154
	v_cmp_eq_u32_e64 s0, 0, v36
                                        ; implicit-def: $vgpr137
                                        ; implicit-def: $vgpr138
                                        ; implicit-def: $vgpr139
                                        ; implicit-def: $vgpr140
                                        ; implicit-def: $vgpr141
                                        ; implicit-def: $vgpr142
                                        ; implicit-def: $vgpr143
                                        ; implicit-def: $vgpr144
                                        ; implicit-def: $vgpr133
                                        ; implicit-def: $vgpr134
                                        ; implicit-def: $vgpr135
                                        ; implicit-def: $vgpr136
                                        ; implicit-def: $vgpr145
                                        ; implicit-def: $vgpr146
                                        ; implicit-def: $vgpr147
                                        ; implicit-def: $vgpr148
	s_delay_alu instid0(VALU_DEP_1)
	s_and_saveexec_b32 s1, s0
	s_cbranch_execz .LBB0_14
; %bb.13:
	ds_load_u16 v59, v1 offset:68
	ds_load_u16 v137, v1 offset:138
	;; [unrolled: 1-line block ×17, first 2 shown]
.LBB0_14:
	s_wait_alu 0xfffe
	s_or_b32 exec_lo, exec_lo, s1
	v_sub_f16_e32 v9, v68, v9
	v_add_f16_e32 v68, v81, v94
	v_pk_add_f16 v81, v87, v98
	v_sub_f16_e32 v0, v0, v4
	v_add_f16_e32 v4, v82, v92
	v_sub_f16_e32 v23, v23, v76
	v_add_f16_e32 v76, v80, v95
	v_pk_add_f16 v80, v91, v86 neg_lo:[0,1] neg_hi:[0,1]
	v_lshrrev_b32_e32 v82, 16, v81
	v_sub_f16_e32 v5, v5, v6
	v_add_f16_e32 v6, v85, v93
	v_sub_f16_e32 v16, v16, v77
	v_add_f16_e32 v77, v78, v108
	v_lshrrev_b32_e32 v78, 16, v80
	v_add_f16_e32 v85, v82, v4
	v_sub_f16_e32 v86, v4, v82
	v_sub_f16_e32 v82, v82, v81
	;; [unrolled: 1-line block ×3, first 2 shown]
	v_add_f16_e32 v87, v78, v80
	v_add_f16_e32 v81, v85, v81
	v_sub_f16_e32 v85, v80, v78
	v_sub_f16_e32 v78, v78, v0
	v_lshrrev_b32_e32 v2, 16, v2
	v_sub_f16_e32 v80, v0, v80
	v_add_f16_e32 v0, v0, v87
	v_mul_f16_e32 v4, 0x2b26, v4
	v_mul_f16_e32 v87, 0x3a52, v82
	;; [unrolled: 1-line block ×4, first 2 shown]
	v_add_f16_e32 v2, v81, v2
	v_fmamk_f16 v82, v82, 0x3a52, v4
	v_fma_f16 v4, v86, 0x39e0, -v4
	v_fma_f16 v86, v86, 0xb9e0, -v87
	v_fmamk_f16 v87, v80, 0x3574, v85
	v_fma_f16 v78, v78, 0x3b00, -v85
	v_fma_f16 v80, v80, 0xb574, -v91
	v_fmamk_f16 v81, v81, 0xbcab, v2
	v_pk_add_f16 v19, v99, v19 neg_lo:[0,1] neg_hi:[0,1]
	v_fmac_f16_e32 v87, 0x370e, v0
	v_fmac_f16_e32 v78, 0x370e, v0
	;; [unrolled: 1-line block ×3, first 2 shown]
	v_lshrrev_b32_e32 v0, 16, v12
	v_pk_add_f16 v12, v51, v101
	v_add_f16_e32 v82, v82, v81
	v_add_f16_e32 v4, v4, v81
	;; [unrolled: 1-line block ×3, first 2 shown]
	v_lshrrev_b32_e32 v3, 16, v3
	v_lshrrev_b32_e32 v91, 16, v12
	v_sub_f16_e32 v51, v82, v87
	v_add_f16_e32 v86, v78, v4
	v_sub_f16_e32 v85, v81, v80
	v_sub_f16_e32 v4, v4, v78
	v_add_f16_e32 v78, v80, v81
	v_add_f16_e32 v80, v87, v82
	v_lshrrev_b32_e32 v81, 16, v19
	v_add_f16_e32 v82, v91, v6
	v_sub_f16_e32 v87, v6, v91
	v_sub_f16_e32 v91, v91, v12
	;; [unrolled: 1-line block ×3, first 2 shown]
	v_add_f16_e32 v92, v81, v19
	v_add_f16_e32 v12, v82, v12
	v_sub_f16_e32 v82, v19, v81
	v_sub_f16_e32 v19, v5, v19
	;; [unrolled: 1-line block ×3, first 2 shown]
	v_add_f16_e32 v5, v5, v92
	v_add_f16_e32 v92, v12, v3
	v_mul_f16_e32 v3, 0x2b26, v6
	v_mul_f16_e32 v6, 0x3a52, v91
	;; [unrolled: 1-line block ×4, first 2 shown]
	v_fmamk_f16 v12, v12, 0xbcab, v92
	v_fmamk_f16 v91, v91, 0x3a52, v3
	v_fma_f16 v3, v87, 0x39e0, -v3
	v_fma_f16 v6, v87, 0xb9e0, -v6
	v_fmamk_f16 v87, v19, 0x3574, v82
	v_fma_f16 v19, v19, 0xb574, -v93
	v_fma_f16 v81, v81, 0x3b00, -v82
	v_add_f16_e32 v82, v91, v12
	v_add_f16_e32 v6, v6, v12
	;; [unrolled: 1-line block ×3, first 2 shown]
	v_pk_add_f16 v12, v14, v105
	v_fmac_f16_e32 v19, 0x370e, v5
	v_fmac_f16_e32 v81, 0x370e, v5
	v_pk_add_f16 v13, v103, v13 neg_lo:[0,1] neg_hi:[0,1]
	v_lshrrev_b32_e32 v18, 16, v18
	v_lshrrev_b32_e32 v91, 16, v12
	v_sub_f16_e32 v14, v6, v19
	v_add_f16_e32 v93, v81, v3
	v_sub_f16_e32 v81, v3, v81
	v_add_f16_e32 v6, v19, v6
	v_lshrrev_b32_e32 v3, 16, v13
	v_add_f16_e32 v19, v91, v68
	v_sub_f16_e32 v94, v68, v91
	v_sub_f16_e32 v91, v91, v12
	;; [unrolled: 1-line block ×3, first 2 shown]
	v_add_f16_e32 v95, v3, v13
	v_add_f16_e32 v12, v19, v12
	v_sub_f16_e32 v19, v13, v3
	v_sub_f16_e32 v3, v3, v9
	;; [unrolled: 1-line block ×3, first 2 shown]
	v_add_f16_e32 v9, v9, v95
	v_add_f16_e32 v18, v12, v18
	v_mul_f16_e32 v68, 0x2b26, v68
	v_mul_f16_e32 v95, 0x3a52, v91
	;; [unrolled: 1-line block ×4, first 2 shown]
	v_fmamk_f16 v12, v12, 0xbcab, v18
	v_fmamk_f16 v91, v91, 0x3a52, v68
	v_fma_f16 v68, v94, 0x39e0, -v68
	v_fma_f16 v94, v94, 0xb9e0, -v95
	v_fmamk_f16 v95, v13, 0x3574, v19
	v_fma_f16 v3, v3, 0x3b00, -v19
	v_fma_f16 v13, v13, 0xb574, -v98
	v_pk_add_f16 v11, v11, v107
	v_fmac_f16_e32 v87, 0x370e, v5
	v_add_f16_e32 v19, v91, v12
	v_add_f16_e32 v68, v68, v12
	;; [unrolled: 1-line block ×3, first 2 shown]
	v_fmac_f16_e32 v95, 0x370e, v9
	v_fmac_f16_e32 v13, 0x370e, v9
	;; [unrolled: 1-line block ×3, first 2 shown]
	v_pk_add_f16 v10, v106, v10 neg_lo:[0,1] neg_hi:[0,1]
	v_lshrrev_b32_e32 v94, 16, v11
	v_sub_f16_e32 v5, v82, v87
	v_add_f16_e32 v9, v87, v82
	v_sub_f16_e32 v82, v19, v95
	v_sub_f16_e32 v87, v12, v13
	v_add_f16_e32 v91, v3, v68
	v_sub_f16_e32 v68, v68, v3
	v_add_f16_e32 v12, v13, v12
	v_add_f16_e32 v13, v95, v19
	v_lshrrev_b32_e32 v3, 16, v10
	v_add_f16_e32 v19, v94, v76
	v_lshrrev_b32_e32 v17, 16, v17
	v_sub_f16_e32 v95, v76, v94
	v_sub_f16_e32 v94, v94, v11
	v_sub_f16_e32 v76, v11, v76
	v_add_f16_e32 v98, v3, v10
	v_add_f16_e32 v11, v19, v11
	v_sub_f16_e32 v19, v10, v3
	v_sub_f16_e32 v3, v3, v23
	;; [unrolled: 1-line block ×3, first 2 shown]
	v_add_f16_e32 v23, v23, v98
	v_add_f16_e32 v17, v11, v17
	v_mul_f16_e32 v76, 0x2b26, v76
	v_mul_f16_e32 v98, 0x3a52, v94
	;; [unrolled: 1-line block ×4, first 2 shown]
	v_fmamk_f16 v11, v11, 0xbcab, v17
	v_fmamk_f16 v94, v94, 0x3a52, v76
	v_fma_f16 v76, v95, 0x39e0, -v76
	v_fma_f16 v95, v95, 0xb9e0, -v98
	v_fmamk_f16 v98, v10, 0x3574, v19
	v_fma_f16 v3, v3, 0x3b00, -v19
	v_fma_f16 v10, v10, 0xb574, -v99
	v_pk_add_f16 v8, v8, v110
	v_add_f16_e32 v76, v76, v11
	v_fmac_f16_e32 v98, 0x370e, v23
	v_fmac_f16_e32 v3, 0x370e, v23
	;; [unrolled: 1-line block ×3, first 2 shown]
	v_pk_add_f16 v7, v109, v7 neg_lo:[0,1] neg_hi:[0,1]
	v_lshrrev_b32_e32 v23, 16, v8
	v_add_f16_e32 v19, v94, v11
	v_add_f16_e32 v99, v3, v76
	v_sub_f16_e32 v76, v76, v3
	v_lshrrev_b32_e32 v3, 16, v7
	v_add_f16_e32 v101, v23, v77
	v_sub_f16_e32 v103, v77, v23
	v_sub_f16_e32 v23, v23, v8
	;; [unrolled: 1-line block ×3, first 2 shown]
	v_add_f16_e32 v105, v3, v7
	v_add_f16_e32 v8, v101, v8
	v_sub_f16_e32 v101, v7, v3
	v_sub_f16_e32 v3, v3, v16
	v_mul_f16_e32 v77, 0x2b26, v77
	v_sub_f16_e32 v7, v16, v7
	v_add_f16_e32 v0, v8, v0
	v_mul_f16_e32 v101, 0xb846, v101
	v_add_f16_e32 v16, v16, v105
	v_mul_f16_e32 v105, 0x3a52, v23
	v_mul_f16_e32 v106, 0x3b00, v3
	v_fmamk_f16 v8, v8, 0xbcab, v0
	v_fmamk_f16 v23, v23, 0x3a52, v77
	v_fma_f16 v77, v103, 0x39e0, -v77
	v_fma_f16 v3, v3, 0x3b00, -v101
	;; [unrolled: 1-line block ×3, first 2 shown]
	v_fmamk_f16 v105, v7, 0x3574, v101
	v_fma_f16 v7, v7, 0xb574, -v106
	v_add_f16_e32 v11, v95, v11
	v_add_f16_e32 v77, v77, v8
	v_fmac_f16_e32 v3, 0x370e, v16
	v_add_f16_e32 v23, v23, v8
	v_add_f16_e32 v8, v103, v8
	v_fmac_f16_e32 v7, 0x370e, v16
	v_fmac_f16_e32 v105, 0x370e, v16
	v_sub_f16_e32 v94, v19, v98
	v_sub_f16_e32 v95, v11, v10
	v_add_f16_e32 v10, v10, v11
	v_add_f16_e32 v11, v98, v19
	;; [unrolled: 1-line block ×3, first 2 shown]
	v_sub_f16_e32 v77, v77, v3
	v_pack_b32_f16 v4, v4, v78
	v_pack_b32_f16 v3, v85, v86
	;; [unrolled: 1-line block ×3, first 2 shown]
	v_sub_f16_e32 v19, v8, v7
	v_add_f16_e32 v8, v7, v8
	v_pack_b32_f16 v7, v81, v6
	v_pack_b32_f16 v6, v14, v93
	;; [unrolled: 1-line block ×3, first 2 shown]
	v_sub_f16_e32 v16, v23, v105
	global_wb scope:SCOPE_SE
	s_wait_dscnt 0x0
	s_barrier_signal -1
	s_barrier_wait -1
	global_inv scope:SCOPE_SE
	ds_store_b96 v15, v[2:4]
	ds_store_b16 v15, v80 offset:12
	ds_store_b96 v84, v[5:7]
	ds_store_b16 v84, v9 offset:12
	v_pack_b32_f16 v4, v68, v12
	v_pack_b32_f16 v3, v87, v91
	;; [unrolled: 1-line block ×9, first 2 shown]
	v_add_f16_e32 v23, v105, v23
	ds_store_b96 v89, v[2:4]
	ds_store_b16 v89, v13 offset:12
	ds_store_b96 v90, v[5:7]
	ds_store_b16 v90, v11 offset:12
	;; [unrolled: 2-line block ×3, first 2 shown]
	global_wb scope:SCOPE_SE
	s_wait_dscnt 0x0
	s_barrier_signal -1
	s_barrier_wait -1
	global_inv scope:SCOPE_SE
	ds_load_u16 v68, v44
	ds_load_u16 v99, v40 offset:70
	ds_load_u16 v77, v40 offset:104
	;; [unrolled: 1-line block ×31, first 2 shown]
	ds_load_u16 v51, v45
	ds_load_u16 v159, v40 offset:1154
                                        ; implicit-def: $vgpr162
                                        ; implicit-def: $vgpr163
                                        ; implicit-def: $vgpr164
                                        ; implicit-def: $vgpr165
                                        ; implicit-def: $vgpr166
                                        ; implicit-def: $vgpr167
                                        ; implicit-def: $vgpr168
                                        ; implicit-def: $vgpr169
                                        ; implicit-def: $vgpr149
                                        ; implicit-def: $vgpr155
                                        ; implicit-def: $vgpr158
                                        ; implicit-def: $vgpr160
                                        ; implicit-def: $vgpr171
                                        ; implicit-def: $vgpr172
                                        ; implicit-def: $vgpr174
                                        ; implicit-def: $vgpr176
	s_and_saveexec_b32 s1, s0
	s_cbranch_execz .LBB0_16
; %bb.15:
	ds_load_u16 v23, v1 offset:68
	ds_load_u16 v162, v1 offset:138
	;; [unrolled: 1-line block ×17, first 2 shown]
.LBB0_16:
	s_wait_alu 0xfffe
	s_or_b32 exec_lo, exec_lo, s1
	v_and_b32_e32 v0, 0xff, v36
	v_and_b32_e32 v2, 0xff, v39
	s_delay_alu instid0(VALU_DEP_2) | instskip(NEXT) | instid1(VALU_DEP_2)
	v_mul_lo_u16 v0, v0, 37
	v_mul_lo_u16 v2, v2, 37
	s_delay_alu instid0(VALU_DEP_2) | instskip(NEXT) | instid1(VALU_DEP_2)
	v_lshrrev_b16 v0, 8, v0
	v_lshrrev_b16 v2, 8, v2
	s_delay_alu instid0(VALU_DEP_2) | instskip(NEXT) | instid1(VALU_DEP_1)
	v_sub_nc_u16 v1, v36, v0
	v_lshrrev_b16 v1, 1, v1
	s_delay_alu instid0(VALU_DEP_1) | instskip(NEXT) | instid1(VALU_DEP_1)
	v_and_b32_e32 v1, 0x7f, v1
	v_add_nc_u16 v0, v1, v0
	v_sub_nc_u16 v1, v39, v2
	s_delay_alu instid0(VALU_DEP_2) | instskip(NEXT) | instid1(VALU_DEP_2)
	v_lshrrev_b16 v128, 2, v0
	v_lshrrev_b16 v0, 1, v1
	v_and_b32_e32 v1, 0xff, v41
	s_delay_alu instid0(VALU_DEP_3) | instskip(NEXT) | instid1(VALU_DEP_3)
	v_mul_lo_u16 v3, v128, 7
	v_and_b32_e32 v0, 0x7f, v0
	s_delay_alu instid0(VALU_DEP_3) | instskip(SKIP_1) | instid1(VALU_DEP_4)
	v_mul_lo_u16 v1, v1, 37
	v_and_b32_e32 v128, 0xffff, v128
	v_sub_nc_u16 v3, v36, v3
	s_delay_alu instid0(VALU_DEP_4) | instskip(NEXT) | instid1(VALU_DEP_4)
	v_add_nc_u16 v0, v0, v2
	v_lshrrev_b16 v1, 8, v1
	s_delay_alu instid0(VALU_DEP_3) | instskip(NEXT) | instid1(VALU_DEP_3)
	v_and_b32_e32 v131, 0xff, v3
	v_lshrrev_b16 v129, 2, v0
	s_delay_alu instid0(VALU_DEP_3) | instskip(NEXT) | instid1(VALU_DEP_3)
	v_sub_nc_u16 v0, v41, v1
	v_lshlrev_b32_e32 v2, 6, v131
	s_delay_alu instid0(VALU_DEP_3) | instskip(NEXT) | instid1(VALU_DEP_3)
	v_mul_lo_u16 v3, v129, 7
	v_lshrrev_b16 v0, 1, v0
	v_and_b32_e32 v129, 0xffff, v129
	s_clause 0x2
	global_load_b128 v[103:106], v2, s[4:5]
	global_load_b128 v[124:127], v2, s[4:5] offset:16
	global_load_b128 v[178:181], v2, s[4:5] offset:32
	v_and_b32_e32 v0, 0x7f, v0
	v_sub_nc_u16 v3, v39, v3
	global_load_b128 v[182:185], v2, s[4:5] offset:48
	v_add_nc_u16 v0, v0, v1
	v_and_b32_e32 v130, 0xff, v3
	s_delay_alu instid0(VALU_DEP_2) | instskip(NEXT) | instid1(VALU_DEP_2)
	v_lshrrev_b16 v0, 2, v0
	v_lshlrev_b32_e32 v1, 6, v130
	s_delay_alu instid0(VALU_DEP_2)
	v_mul_lo_u16 v0, v0, 7
	s_clause 0x2
	global_load_b128 v[12:15], v1, s[4:5]
	global_load_b128 v[8:11], v1, s[4:5] offset:16
	global_load_b128 v[4:7], v1, s[4:5] offset:32
	v_sub_nc_u16 v16, v41, v0
	global_load_b128 v[0:3], v1, s[4:5] offset:48
	v_and_b32_e32 v132, 0xff, v16
	s_delay_alu instid0(VALU_DEP_1)
	v_lshlrev_b32_e32 v101, 6, v132
	s_clause 0x3
	global_load_b128 v[16:19], v101, s[4:5]
	global_load_b128 v[186:189], v101, s[4:5] offset:16
	global_load_b128 v[190:193], v101, s[4:5] offset:32
	;; [unrolled: 1-line block ×3, first 2 shown]
	global_wb scope:SCOPE_SE
	s_wait_loadcnt_dscnt 0x0
	s_barrier_signal -1
	s_barrier_wait -1
	global_inv scope:SCOPE_SE
	v_lshrrev_b32_e32 v101, 16, v103
	v_lshrrev_b32_e32 v107, 16, v104
	v_lshrrev_b32_e32 v108, 16, v105
	v_lshrrev_b32_e32 v109, 16, v106
	v_lshrrev_b32_e32 v113, 16, v125
	v_mul_f16_e32 v110, v99, v101
	v_mul_f16_e32 v122, v73, v101
	;; [unrolled: 1-line block ×3, first 2 shown]
	v_lshrrev_b32_e32 v112, 16, v124
	v_lshrrev_b32_e32 v116, 16, v126
	v_fma_f16 v123, v73, v103, -v110
	v_mul_f16_e32 v73, v98, v108
	v_lshrrev_b32_e32 v117, 16, v127
	v_mul_f16_e32 v118, v72, v107
	v_fma_f16 v120, v72, v104, -v101
	v_mul_f16_e32 v114, v74, v108
	v_mul_f16_e32 v72, v92, v109
	v_fma_f16 v115, v74, v105, -v73
	v_mul_f16_e32 v73, v90, v113
	v_lshrrev_b32_e32 v119, 16, v178
	v_fmac_f16_e32 v118, v95, v104
	v_fmac_f16_e32 v114, v98, v105
	v_fma_f16 v111, v70, v106, -v72
	v_mul_f16_e32 v72, v94, v112
	v_mul_f16_e32 v104, v67, v113
	v_fma_f16 v105, v67, v125, -v73
	v_mul_f16_e32 v98, v64, v116
	v_mul_f16_e32 v67, v89, v117
	v_lshrrev_b32_e32 v121, 16, v179
	v_mul_f16_e32 v110, v70, v109
	v_mul_f16_e32 v107, v69, v112
	v_fma_f16 v109, v69, v124, -v72
	v_mul_f16_e32 v69, v91, v116
	v_fmac_f16_e32 v104, v90, v125
	v_mul_f16_e32 v90, v62, v117
	v_fmac_f16_e32 v98, v91, v126
	v_fma_f16 v91, v62, v127, -v67
	v_mul_f16_e32 v62, v93, v119
	v_lshrrev_b32_e32 v199, 16, v181
	v_fmac_f16_e32 v107, v94, v124
	v_lshrrev_b32_e32 v198, 16, v180
	v_lshrrev_b32_e32 v200, 16, v182
	v_fma_f16 v94, v63, v178, -v62
	v_mul_f16_e32 v62, v85, v121
	v_lshrrev_b32_e32 v203, 16, v185
	v_lshrrev_b32_e32 v205, 16, v13
	v_fmac_f16_e32 v122, v99, v103
	v_fmac_f16_e32 v110, v92, v106
	v_mul_f16_e32 v92, v63, v119
	v_mul_f16_e32 v101, v61, v121
	v_fma_f16 v103, v61, v179, -v62
	v_mul_f16_e64 v61, v76, v199
	v_lshrrev_b32_e32 v201, 16, v183
	v_lshrrev_b32_e32 v202, 16, v184
	;; [unrolled: 1-line block ×8, first 2 shown]
	v_fmac_f16_e64 v92, v93, v178
	v_mul_f16_e64 v63, v80, v198
	v_mul_f16_e64 v106, v58, v198
	v_mul_f16_e64 v112, v55, v199
	v_mul_f16_e64 v116, v57, v200
	v_fma_f16 v113, v55, v181, -v61
	v_mul_f16_e64 v55, v78, v203
	v_mul_f16_e64 v124, v50, v203
	;; [unrolled: 1-line block ×3, first 2 shown]
	v_lshrrev_b32_e32 v210, 16, v10
	v_lshrrev_b32_e32 v211, 16, v11
	v_lshrrev_b32_e32 v212, 16, v4
	v_lshrrev_b32_e32 v213, 16, v5
	v_lshrrev_b32_e32 v214, 16, v6
	v_lshrrev_b32_e32 v215, 16, v7
	v_lshrrev_b32_e32 v216, 16, v0
	v_lshrrev_b32_e32 v218, 16, v2
	v_lshrrev_b32_e32 v74, 16, v17
	v_lshrrev_b32_e32 v221, 16, v18
	v_lshrrev_b32_e32 v222, 16, v186
	v_lshrrev_b32_e32 v223, 16, v187
	v_lshrrev_b32_e32 v224, 16, v188
	v_lshrrev_b32_e32 v225, 16, v189
	v_fma_f16 v99, v64, v126, -v69
	v_lshrrev_b32_e32 v228, 16, v192
	v_lshrrev_b32_e32 v229, 16, v193
	v_fmac_f16_e32 v90, v89, v127
	v_lshrrev_b32_e32 v231, 16, v195
	v_lshrrev_b32_e32 v233, 16, v197
	v_fmac_f16_e64 v101, v85, v179
	v_mul_f16_e64 v62, v87, v200
	v_fma_f16 v108, v58, v180, -v63
	v_mul_f16_e64 v58, v86, v201
	v_mul_f16_e64 v119, v53, v201
	v_fmac_f16_e64 v106, v80, v180
	v_mul_f16_e64 v64, v82, v202
	v_mul_f16_e64 v125, v52, v202
	v_fmac_f16_e64 v112, v76, v181
	v_mul_f16_e64 v89, v46, v204
	v_mul_f16_e64 v85, v48, v205
	;; [unrolled: 1-line block ×8, first 2 shown]
	v_fmac_f16_e64 v116, v87, v182
	v_fma_f16 v127, v50, v185, -v55
	v_fmac_f16_e64 v124, v78, v185
	v_fma_f16 v87, v48, v13, -v178
	v_mul_f16_e64 v178, v165, v70
	v_mul_f16_e64 v50, v140, v70
	v_lshrrev_b32_e32 v217, 16, v1
	v_lshrrev_b32_e32 v219, 16, v3
	;; [unrolled: 1-line block ×7, first 2 shown]
	v_mul_f16_e64 v95, v77, v204
	v_mul_f16_e64 v76, v49, v207
	v_fma_f16 v117, v57, v182, -v62
	v_mul_f16_e64 v67, v56, v209
	v_mul_f16_e64 v182, v150, v210
	;; [unrolled: 1-line block ×3, first 2 shown]
	v_fma_f16 v121, v53, v183, -v58
	v_mul_f16_e64 v199, v170, v211
	v_mul_f16_e64 v61, v65, v211
	v_fmac_f16_e64 v119, v86, v183
	v_mul_f16_e64 v183, v157, v212
	v_mul_f16_e64 v62, v66, v212
	v_fma_f16 v126, v52, v184, -v64
	v_mul_f16_e64 v200, v154, v213
	v_mul_f16_e64 v64, v71, v213
	v_fmac_f16_e64 v125, v82, v184
	v_mul_f16_e64 v184, v151, v214
	v_mul_f16_e64 v69, v75, v214
	v_mul_f16_e64 v201, v173, v215
	v_mul_f16_e64 v73, v79, v215
	v_mul_f16_e64 v185, v161, v216
	v_mul_f16_e64 v78, v83, v216
	v_mul_f16_e64 v203, v153, v218
	v_mul_f16_e64 v86, v96, v218
	v_mul_f16_e64 v206, v163, v74
	v_mul_f16_e64 v57, v138, v74
	v_fmac_f16_e32 v89, v77, v12
	v_mul_f16_e64 v207, v164, v221
	v_mul_f16_e64 v53, v139, v221
	v_fmac_f16_e32 v85, v84, v13
	v_mul_f16_e64 v208, v166, v222
	v_fma_f16 v84, v47, v14, -v179
	v_mul_f16_e64 v179, v167, v223
	v_fmac_f16_e32 v80, v81, v14
	v_mul_f16_e64 v209, v168, v224
	v_fma_f16 v81, v49, v15, -v180
	v_mul_f16_e64 v180, v169, v225
	v_mul_f16_e64 v211, v172, v228
	;; [unrolled: 1-line block ×3, first 2 shown]
	v_fma_f16 v77, v54, v8, -v181
	v_mul_f16_e64 v181, v158, v231
	v_fmac_f16_e64 v72, v175, v8
	v_fma_f16 v74, v56, v9, -v198
	v_mul_f16_e64 v198, v149, v233
	v_fma_f16 v8, v140, v19, -v178
	v_fmac_f16_e64 v50, v165, v19
	v_sub_f16_e32 v19, v122, v124
	v_mul_f16_e64 v202, v156, v217
	v_mul_f16_e64 v82, v88, v217
	;; [unrolled: 1-line block ×6, first 2 shown]
	v_fma_f16 v95, v46, v12, -v95
	v_mul_f16_e64 v48, v141, v222
	v_mul_f16_e64 v46, v142, v223
	;; [unrolled: 1-line block ×4, first 2 shown]
	v_fmac_f16_e64 v76, v177, v15
	v_mul_f16_e64 v177, v176, v226
	v_mul_f16_e64 v210, v174, v227
	;; [unrolled: 1-line block ×8, first 2 shown]
	v_fma_f16 v70, v60, v10, -v182
	v_fmac_f16_e64 v63, v150, v10
	v_fma_f16 v65, v65, v11, -v199
	v_fmac_f16_e64 v61, v170, v11
	;; [unrolled: 2-line block ×9, first 2 shown]
	v_fma_f16 v6, v141, v186, -v208
	v_fma_f16 v4, v142, v187, -v179
	;; [unrolled: 1-line block ×8, first 2 shown]
	v_add_f16_e64 v133, v123, v127
	v_sub_f16_e64 v135, v118, v125
	v_mul_f16_e64 v140, 0xb5c8, v19
	v_mul_f16_e64 v141, 0xb964, v19
	v_mul_f16_e64 v142, 0xbb29, v19
	v_mul_f16_e64 v143, 0xbbf7, v19
	v_mul_f16_e64 v144, 0xbbb2, v19
	v_mul_f16_e64 v145, 0xba62, v19
	v_mul_f16_e64 v146, 0xb836, v19
	v_mul_f16_e32 v19, 0xb1e1, v19
	v_mul_f16_e64 v13, v148, v226
	v_mul_f16_e64 v15, v147, v227
	;; [unrolled: 1-line block ×4, first 2 shown]
	v_fmac_f16_e64 v67, v152, v9
	v_fma_f16 v88, v88, v1, -v202
	v_fmac_f16_e64 v82, v156, v1
	v_fma_f16 v100, v100, v3, -v204
	;; [unrolled: 2-line block ×4, first 2 shown]
	v_fmac_f16_e64 v57, v163, v17
	v_fmac_f16_e64 v48, v166, v186
	v_fma_f16 v1, v148, v190, -v177
	v_fma_f16 v3, v147, v191, -v210
	v_fmac_f16_e64 v49, v171, v193
	v_fma_f16 v9, v136, v194, -v213
	v_fma_f16 v17, v134, v196, -v175
	v_fmac_f16_e64 v56, v149, v197
	v_add_f16_e64 v134, v120, v126
	v_sub_f16_e64 v136, v114, v119
	v_mul_f16_e64 v147, 0xb964, v135
	v_mul_f16_e64 v148, 0xbbf7, v135
	;; [unrolled: 1-line block ×8, first 2 shown]
	v_fma_f16 v164, v133, 0x3b76, -v140
	v_fmac_f16_e64 v140, 0x3b76, v133
	v_fma_f16 v165, v133, 0x39e9, -v141
	v_fmac_f16_e64 v141, 0x39e9, v133
	v_fma_f16 v166, v133, 0x3722, -v142
	v_fma_f16 v171, v133, 0xbbdd, -v19
	v_fmac_f16_e64 v19, 0xbbdd, v133
	v_fmac_f16_e64 v46, v167, v187
	;; [unrolled: 1-line block ×8, first 2 shown]
	v_add_f16_e64 v137, v115, v121
	v_sub_f16_e64 v138, v110, v116
	v_mul_f16_e64 v154, 0xbb29, v136
	v_mul_f16_e64 v155, 0xba62, v136
	;; [unrolled: 1-line block ×8, first 2 shown]
	v_fmac_f16_e64 v142, 0x3722, v133
	v_fma_f16 v167, v133, 0x2de8, -v143
	v_fmac_f16_e64 v143, 0x2de8, v133
	v_fma_f16 v168, v133, 0xb461, -v144
	v_fmac_f16_e64 v144, 0xb461, v133
	v_fma_f16 v169, v133, 0xb8d2, -v145
	v_fmac_f16_e64 v145, 0xb8d2, v133
	v_fma_f16 v170, v133, 0xbacd, -v146
	v_fmac_f16_e64 v146, 0xbacd, v133
	v_fma_f16 v133, v134, 0x39e9, -v147
	v_fmac_f16_e64 v147, 0x39e9, v134
	v_fma_f16 v172, v134, 0x2de8, -v148
	v_fmac_f16_e64 v148, 0x2de8, v134
	v_fma_f16 v173, v134, 0xb8d2, -v149
	v_fma_f16 v178, v134, 0x3b76, -v135
	v_fmac_f16_e64 v135, 0x3b76, v134
	v_add_f16_e64 v164, v97, v164
	v_add_f16_e64 v140, v97, v140
	;; [unrolled: 1-line block ×4, first 2 shown]
	v_add_f16_e32 v19, v97, v19
	v_fmac_f16_e64 v13, v176, v190
	v_fmac_f16_e64 v15, v174, v191
	v_add_f16_e64 v139, v111, v117
	v_mul_f16_e64 v161, 0xbbf7, v138
	v_mul_f16_e64 v162, 0xb1e1, v138
	;; [unrolled: 1-line block ×3, first 2 shown]
	v_fmac_f16_e64 v149, 0xb8d2, v134
	v_fma_f16 v174, v134, 0xbbdd, -v150
	v_fmac_f16_e64 v150, 0xbbdd, v134
	v_fma_f16 v175, v134, 0xbacd, -v151
	;; [unrolled: 2-line block ×7, first 2 shown]
	v_fma_f16 v185, v137, 0xbacd, -v136
	v_fmac_f16_e64 v136, 0xbacd, v137
	v_add_f16_e64 v165, v97, v165
	v_add_f16_e64 v142, v97, v142
	;; [unrolled: 1-line block ×16, first 2 shown]
	v_fmac_f16_e64 v156, 0xbbdd, v137
	v_fma_f16 v181, v137, 0xb461, -v157
	v_fmac_f16_e64 v157, 0xb461, v137
	v_fma_f16 v182, v137, 0x39e9, -v158
	;; [unrolled: 2-line block ×5, first 2 shown]
	v_fma_f16 v186, v139, 0xbbdd, -v162
	v_fmac_f16_e64 v162, 0xbbdd, v139
	v_fma_f16 v187, v139, 0xb461, -v163
	v_add_f16_e64 v147, v172, v165
	v_add_f16_e64 v142, v149, v142
	v_add_f16_e64 v149, v174, v167
	v_add_f16_e64 v143, v150, v143
	v_add_f16_e64 v150, v175, v168
	v_add_f16_e64 v144, v151, v144
	v_add_f16_e64 v151, v176, v169
	v_add_f16_e64 v145, v152, v145
	v_add_f16_e64 v152, v177, v170
	v_add_f16_e64 v146, v153, v146
	v_add_f16_e64 v153, v178, v171
	v_add_f16_e64 v133, v134, v133
	v_add_f16_e64 v134, v154, v140
	v_add_f16_e64 v140, v155, v141
	v_add_f16_e64 v141, v180, v148
	v_add_f16_e64 v19, v136, v19
	v_mul_f16_e64 v136, 0x35c8, v138
	v_add_f16_e64 v135, v179, v147
	v_add_f16_e64 v147, v181, v149
	;; [unrolled: 1-line block ×10, first 2 shown]
	v_mul_f16_e64 v141, 0xbb29, v138
	v_fma_f16 v152, v139, 0x3b76, -v136
	v_fmac_f16_e64 v136, 0x3b76, v139
	v_mul_f16_e64 v153, 0xb836, v138
	v_add_f16_e64 v144, v158, v144
	v_fma_f16 v154, v139, 0x3722, -v141
	v_fmac_f16_e64 v141, 0x3722, v139
	v_add_f16_e64 v136, v136, v143
	v_fma_f16 v143, v139, 0xbacd, -v153
	v_add_f16_e64 v145, v159, v145
	v_fmac_f16_e64 v153, 0xbacd, v139
	v_add_f16_e64 v141, v141, v144
	v_mul_f16_e64 v144, 0x3a62, v138
	v_add_f16_e64 v143, v143, v149
	v_mul_f16_e64 v138, 0x3964, v138
	v_sub_f16_e64 v149, v107, v112
	v_add_f16_e64 v146, v160, v146
	v_add_f16_e64 v147, v152, v147
	;; [unrolled: 1-line block ×4, first 2 shown]
	v_fma_f16 v152, v139, 0xb8d2, -v144
	v_fmac_f16_e64 v144, 0xb8d2, v139
	v_fma_f16 v153, v139, 0x39e9, -v138
	v_add_f16_e64 v154, v109, v113
	v_mul_f16_e64 v155, 0xbbb2, v149
	v_fmac_f16_e64 v138, 0x39e9, v139
	v_fmac_f16_e64 v161, 0x2de8, v139
	v_add_f16_e64 v142, v156, v142
	v_fmac_f16_e64 v163, 0xb461, v139
	v_add_f16_e64 v139, v144, v146
	v_add_f16_e64 v144, v153, v151
	v_fma_f16 v146, v154, 0xb461, -v155
	v_mul_f16_e64 v151, 0x3836, v149
	v_add_f16_e64 v19, v138, v19
	v_mul_f16_e64 v138, 0x3964, v149
	v_add_f16_e64 v135, v186, v135
	v_add_f16_e64 v142, v163, v142
	;; [unrolled: 1-line block ×4, first 2 shown]
	v_fma_f16 v146, v154, 0xbacd, -v151
	v_fmac_f16_e64 v151, 0xbacd, v154
	v_fma_f16 v152, v154, 0x39e9, -v138
	v_mul_f16_e64 v153, 0xbb29, v149
	v_fmac_f16_e64 v138, 0x39e9, v154
	v_add_f16_e64 v135, v146, v135
	v_add_f16_e64 v137, v151, v137
	v_mul_f16_e64 v151, 0xb1e1, v149
	v_fma_f16 v146, v154, 0x3722, -v153
	v_fmac_f16_e64 v153, 0x3722, v154
	v_add_f16_e64 v138, v138, v142
	v_mul_f16_e64 v142, 0x3bf7, v149
	v_add_f16_e64 v140, v152, v140
	v_add_f16_e64 v146, v146, v147
	v_fma_f16 v147, v154, 0xbbdd, -v151
	v_add_f16_e64 v136, v153, v136
	v_fma_f16 v152, v154, 0x2de8, -v142
	v_mul_f16_e64 v153, 0xb5c8, v149
	v_fmac_f16_e64 v142, 0x2de8, v154
	v_fmac_f16_e64 v151, 0xbbdd, v154
	v_add_f16_e64 v147, v147, v148
	v_mul_f16_e64 v149, 0xba62, v149
	v_fma_f16 v148, v154, 0x3b76, -v153
	v_add_f16_e64 v142, v142, v145
	v_sub_f16_e64 v145, v104, v106
	v_add_f16_e64 v134, v161, v134
	v_fmac_f16_e64 v155, 0xb461, v154
	v_add_f16_e64 v141, v151, v141
	v_add_f16_e64 v143, v152, v143
	v_fmac_f16_e64 v153, 0x3b76, v154
	v_add_f16_e64 v148, v148, v150
	v_fma_f16 v150, v154, 0xb8d2, -v149
	v_add_f16_e64 v151, v105, v108
	v_mul_f16_e64 v152, 0xba62, v145
	v_fmac_f16_e64 v149, 0xb8d2, v154
	v_add_f16_e64 v134, v155, v134
	v_add_f16_e64 v139, v153, v139
	;; [unrolled: 1-line block ×3, first 2 shown]
	v_mul_f16_e64 v150, 0x3bb2, v145
	v_fma_f16 v153, v151, 0xb8d2, -v152
	v_fmac_f16_e64 v152, 0xb8d2, v151
	v_add_f16_e64 v19, v149, v19
	v_mul_f16_e64 v149, 0xb5c8, v145
	v_fma_f16 v154, v151, 0xb461, -v150
	v_add_f16_e64 v133, v153, v133
	v_add_f16_e64 v134, v152, v134
	v_fmac_f16_e64 v150, 0xb461, v151
	v_fma_f16 v152, v151, 0x3b76, -v149
	v_mul_f16_e64 v153, 0xb836, v145
	v_fmac_f16_e64 v149, 0x3b76, v151
	v_add_f16_e64 v135, v154, v135
	v_add_f16_e64 v137, v150, v137
	;; [unrolled: 1-line block ×3, first 2 shown]
	v_mul_f16_e64 v150, 0x3bf7, v145
	v_fma_f16 v152, v151, 0xbacd, -v153
	v_add_f16_e64 v138, v149, v138
	v_mul_f16_e64 v149, 0xb964, v145
	v_fmac_f16_e64 v153, 0xbacd, v151
	v_fma_f16 v154, v151, 0x2de8, -v150
	v_add_f16_e64 v146, v152, v146
	v_fmac_f16_e64 v150, 0x2de8, v151
	v_fma_f16 v152, v151, 0x39e9, -v149
	v_fmac_f16_e64 v149, 0x39e9, v151
	v_add_f16_e64 v147, v154, v147
	v_add_f16_e64 v154, v99, v103
	;; [unrolled: 1-line block ×3, first 2 shown]
	v_mul_f16_e64 v150, 0xb1e1, v145
	v_add_f16_e64 v142, v149, v142
	v_sub_f16_e64 v149, v98, v101
	v_add_f16_e64 v143, v152, v143
	v_mul_f16_e64 v145, 0x3b29, v145
	v_fma_f16 v152, v151, 0xbbdd, -v150
	v_fmac_f16_e64 v150, 0xbbdd, v151
	v_mul_f16_e64 v155, 0xb836, v149
	v_add_f16_e64 v136, v153, v136
	v_fma_f16 v153, v151, 0x3722, -v145
	v_fmac_f16_e64 v145, 0x3722, v151
	v_add_f16_e64 v139, v150, v139
	v_fma_f16 v150, v154, 0xbacd, -v155
	v_mul_f16_e64 v151, 0x3b29, v149
	v_add_f16_e64 v144, v153, v144
	v_add_f16_e64 v19, v145, v19
	v_mul_f16_e64 v145, 0xbbf7, v149
	v_add_f16_e64 v133, v150, v133
	v_fma_f16 v150, v154, 0x3722, -v151
	v_fmac_f16_e64 v151, 0x3722, v154
	v_mul_f16_e64 v153, 0x3a62, v149
	v_add_f16_e64 v148, v152, v148
	v_fma_f16 v152, v154, 0x2de8, -v145
	v_add_f16_e64 v135, v150, v135
	v_fmac_f16_e64 v145, 0x2de8, v154
	v_add_f16_e64 v137, v151, v137
	v_fma_f16 v150, v154, 0xb8d2, -v153
	v_mul_f16_e64 v151, 0xb5c8, v149
	v_fmac_f16_e64 v153, 0xb8d2, v154
	v_add_f16_e64 v138, v145, v138
	v_mul_f16_e64 v145, 0xb1e1, v149
	v_add_f16_e64 v146, v150, v146
	v_fma_f16 v150, v154, 0x3b76, -v151
	v_fmac_f16_e64 v151, 0x3b76, v154
	v_add_f16_e64 v140, v152, v140
	v_add_f16_e64 v152, v153, v136
	v_fma_f16 v136, v154, 0xbbdd, -v145
	v_fmac_f16_e64 v145, 0xbbdd, v154
	v_add_f16_e64 v147, v150, v147
	v_add_f16_e64 v150, v151, v141
	v_mul_f16_e64 v141, 0x3964, v149
	v_sub_f16_e64 v151, v90, v92
	v_fmac_f16_e64 v155, 0xbacd, v154
	v_add_f16_e64 v143, v136, v143
	v_add_f16_e64 v145, v145, v142
	v_mul_f16_e64 v136, 0xbbb2, v149
	v_fma_f16 v142, v154, 0x39e9, -v141
	v_fmac_f16_e64 v141, 0x39e9, v154
	v_add_f16_e64 v149, v91, v94
	v_mul_f16_e64 v153, 0xb1e1, v151
	v_add_f16_e64 v134, v155, v134
	v_fma_f16 v155, v154, 0xb461, -v136
	v_fmac_f16_e64 v136, 0xb461, v154
	v_add_f16_e64 v154, v141, v139
	v_fma_f16 v139, v149, 0xbbdd, -v153
	v_mul_f16_e64 v141, 0x35c8, v151
	v_add_f16_e64 v148, v142, v148
	v_add_f16_e64 v155, v155, v144
	;; [unrolled: 1-line block ×4, first 2 shown]
	v_mul_f16_e64 v139, 0xb836, v151
	v_fmac_f16_e64 v153, 0xbbdd, v149
	v_fma_f16 v136, v149, 0x3b76, -v141
	v_fmac_f16_e64 v141, 0x3b76, v149
	v_mul_f16_e64 v142, 0x3964, v151
	v_fma_f16 v144, v149, 0xbacd, -v139
	v_add_f16_e64 v19, v153, v134
	v_fmac_f16_e64 v139, 0xbacd, v149
	v_add_f16_e64 v134, v141, v137
	v_fma_f16 v141, v149, 0x39e9, -v142
	v_add_f16_e64 v137, v144, v140
	v_mul_f16_e64 v140, 0xba62, v151
	v_add_f16_e64 v136, v136, v135
	v_fmac_f16_e64 v142, 0x39e9, v149
	v_add_f16_e64 v135, v139, v138
	v_add_f16_e64 v139, v141, v146
	v_mul_f16_e64 v144, 0x3b29, v151
	v_fma_f16 v141, v149, 0xb8d2, -v140
	v_mul_f16_e64 v146, 0xbbb2, v151
	v_add_f16_e64 v138, v142, v152
	v_fmac_f16_e64 v140, 0xb8d2, v149
	v_fma_f16 v142, v149, 0x3722, -v144
	v_add_f16_e64 v141, v141, v147
	v_fmac_f16_e64 v144, 0x3722, v149
	v_fma_f16 v147, v149, 0xb461, -v146
	v_add_f16_e64 v140, v140, v150
	v_add_f16_e64 v142, v142, v143
	v_mul_f16_e64 v150, 0x3bf7, v151
	v_add_f16_e64 v143, v144, v145
	v_add_f16_e64 v144, v147, v148
	v_sub_f16_e64 v148, v89, v93
	v_fmac_f16_e64 v146, 0xb461, v149
	v_fma_f16 v147, v149, 0x2de8, -v150
	v_fmac_f16_e64 v150, 0x2de8, v149
	v_add_f16_e64 v149, v95, v100
	v_mul_f16_e64 v151, 0xb5c8, v148
	v_sub_f16_e64 v162, v85, v86
	v_add_f16_e64 v145, v146, v154
	v_add_f16_e64 v146, v147, v155
	;; [unrolled: 1-line block ×3, first 2 shown]
	v_fma_f16 v150, v149, 0x3b76, -v151
	v_fmac_f16_e64 v151, 0x3b76, v149
	v_add_f16_e64 v164, v87, v96
	v_mul_f16_e64 v165, 0xb964, v162
	v_mul_f16_e64 v152, 0xb964, v148
	;; [unrolled: 1-line block ×8, first 2 shown]
	v_add_f16_e64 v150, v102, v150
	v_fma_f16 v167, v164, 0x39e9, -v165
	v_add_f16_e64 v151, v102, v151
	v_fmac_f16_e64 v165, 0x39e9, v164
	v_fma_f16 v154, v149, 0x39e9, -v152
	v_fmac_f16_e64 v152, 0x39e9, v149
	v_fma_f16 v156, v149, 0x3722, -v153
	;; [unrolled: 2-line block ×7, first 2 shown]
	v_mul_f16_e64 v169, 0xbbf7, v162
	v_fmac_f16_e64 v148, 0xbbdd, v149
	v_add_f16_e64 v149, v167, v150
	v_add_f16_e64 v150, v165, v151
	v_mul_f16_e64 v165, 0xba62, v162
	v_mul_f16_e64 v167, 0xb1e1, v162
	v_add_f16_e64 v151, v102, v154
	v_fma_f16 v154, v164, 0x2de8, -v169
	v_add_f16_e64 v156, v102, v156
	v_fma_f16 v170, v164, 0xb8d2, -v165
	;; [unrolled: 2-line block ×3, first 2 shown]
	v_add_f16_e64 v152, v102, v152
	v_fmac_f16_e64 v169, 0x2de8, v164
	v_add_f16_e64 v151, v154, v151
	v_add_f16_e64 v154, v170, v156
	;; [unrolled: 1-line block ×3, first 2 shown]
	v_mul_f16_e64 v158, 0x3836, v162
	v_add_f16_e64 v153, v102, v153
	v_fmac_f16_e64 v165, 0xb8d2, v164
	v_add_f16_e64 v152, v169, v152
	v_add_f16_e64 v157, v102, v157
	v_fma_f16 v169, v164, 0xbacd, -v158
	v_fmac_f16_e64 v158, 0xbacd, v164
	v_add_f16_e64 v153, v165, v153
	v_add_f16_e64 v155, v102, v155
	v_fmac_f16_e64 v167, 0xbbdd, v164
	v_mul_f16_e64 v165, 0x3bb2, v162
	v_add_f16_e64 v157, v158, v157
	v_mul_f16_e64 v158, 0x3b29, v162
	v_add_f16_e64 v159, v102, v159
	v_add_f16_e64 v155, v167, v155
	v_fma_f16 v170, v164, 0xb461, -v165
	v_fmac_f16_e64 v165, 0xb461, v164
	v_add_f16_e64 v166, v102, v166
	v_fma_f16 v167, v164, 0x3722, -v158
	v_add_f16_e64 v160, v102, v160
	v_add_f16_e64 v161, v102, v161
	v_fmac_f16_e64 v158, 0x3722, v164
	v_add_f16_e64 v159, v165, v159
	v_mul_f16_e64 v162, 0x35c8, v162
	v_add_f16_e64 v165, v167, v166
	v_sub_f16_e64 v166, v80, v82
	v_add_f16_e64 v160, v169, v160
	v_add_f16_e64 v158, v158, v161
	;; [unrolled: 1-line block ×3, first 2 shown]
	v_fma_f16 v167, v164, 0x3b76, -v162
	v_add_f16_e64 v168, v84, v88
	v_mul_f16_e64 v169, 0xbb29, v166
	v_fmac_f16_e64 v162, 0x3b76, v164
	v_add_f16_e64 v148, v102, v148
	v_add_f16_e64 v163, v102, v163
	v_add_f16_e64 v161, v167, v161
	v_mul_f16_e64 v164, 0xba62, v166
	v_fma_f16 v167, v168, 0x3722, -v169
	v_fmac_f16_e64 v169, 0x3722, v168
	v_add_f16_e64 v148, v162, v148
	v_mul_f16_e64 v162, 0x31e1, v166
	v_add_f16_e64 v163, v170, v163
	v_fma_f16 v170, v168, 0xb8d2, -v164
	v_add_f16_e64 v149, v167, v149
	v_add_f16_e64 v150, v169, v150
	v_fmac_f16_e64 v164, 0xb8d2, v168
	v_fma_f16 v167, v168, 0xbbdd, -v162
	v_mul_f16_e64 v169, 0x3bb2, v166
	v_fmac_f16_e64 v162, 0xbbdd, v168
	v_add_f16_e64 v151, v170, v151
	v_add_f16_e64 v152, v164, v152
	v_add_f16_e64 v154, v167, v154
	v_mul_f16_e64 v164, 0x3964, v166
	v_fma_f16 v167, v168, 0xb461, -v169
	v_add_f16_e64 v153, v162, v153
	v_mul_f16_e64 v162, 0xb5c8, v166
	v_fmac_f16_e64 v169, 0xb461, v168
	v_fma_f16 v170, v168, 0x39e9, -v164
	v_add_f16_e64 v156, v167, v156
	v_fmac_f16_e64 v164, 0x39e9, v168
	v_fma_f16 v167, v168, 0x3b76, -v162
	v_add_f16_e64 v155, v169, v155
	v_mul_f16_e64 v169, 0xbbf7, v166
	v_fmac_f16_e64 v162, 0x3b76, v168
	v_add_f16_e64 v157, v164, v157
	v_add_f16_e64 v163, v167, v163
	v_mul_f16_e64 v164, 0xb836, v166
	v_sub_f16_e64 v167, v76, v78
	v_add_f16_e64 v160, v170, v160
	v_fma_f16 v166, v168, 0x2de8, -v169
	v_fmac_f16_e64 v169, 0x2de8, v168
	v_fma_f16 v170, v168, 0xbacd, -v164
	v_fmac_f16_e64 v164, 0xbacd, v168
	v_add_f16_e64 v159, v162, v159
	v_add_f16_e64 v162, v81, v83
	v_mul_f16_e64 v168, 0xbbf7, v167
	v_add_f16_e64 v165, v166, v165
	v_add_f16_e64 v158, v169, v158
	v_mul_f16_e64 v166, 0xb1e1, v167
	v_add_f16_e64 v148, v164, v148
	v_fma_f16 v169, v162, 0x2de8, -v168
	v_fmac_f16_e64 v168, 0x2de8, v162
	v_mul_f16_e64 v164, 0x3bb2, v167
	v_add_f16_e64 v161, v170, v161
	v_fma_f16 v170, v162, 0xbbdd, -v166
	v_add_f16_e64 v149, v169, v149
	v_add_f16_e64 v150, v168, v150
	v_fmac_f16_e64 v166, 0xbbdd, v162
	v_fma_f16 v168, v162, 0xb461, -v164
	v_mul_f16_e64 v169, 0x35c8, v167
	v_fmac_f16_e64 v164, 0xb461, v162
	v_add_f16_e64 v151, v170, v151
	v_add_f16_e64 v152, v166, v152
	v_add_f16_e64 v154, v168, v154
	v_mul_f16_e64 v166, 0xbb29, v167
	v_fma_f16 v168, v162, 0x3b76, -v169
	v_add_f16_e64 v153, v164, v153
	v_mul_f16_e64 v164, 0xb836, v167
	v_fmac_f16_e64 v169, 0x3b76, v162
	v_fma_f16 v170, v162, 0x3722, -v166
	v_add_f16_e64 v156, v168, v156
	v_fmac_f16_e64 v166, 0x3722, v162
	v_fma_f16 v168, v162, 0xbacd, -v164
	v_add_f16_e64 v155, v169, v155
	v_mul_f16_e64 v169, 0x3a62, v167
	v_fmac_f16_e64 v164, 0xbacd, v162
	v_add_f16_e64 v157, v166, v157
	v_add_f16_e64 v163, v168, v163
	v_mul_f16_e64 v166, 0x3964, v167
	v_sub_f16_e64 v168, v72, v73
	v_add_f16_e64 v160, v170, v160
	v_fma_f16 v167, v162, 0xb8d2, -v169
	v_fmac_f16_e64 v169, 0xb8d2, v162
	v_fma_f16 v170, v162, 0x39e9, -v166
	v_fmac_f16_e64 v166, 0x39e9, v162
	v_add_f16_e64 v159, v164, v159
	v_add_f16_e64 v162, v77, v79
	v_mul_f16_e64 v164, 0xbbb2, v168
	v_add_f16_e64 v158, v169, v158
	v_add_f16_e64 v148, v166, v148
	v_mul_f16_e64 v166, 0x3964, v168
	v_add_f16_e64 v165, v167, v165
	v_fma_f16 v169, v162, 0xb461, -v164
	v_fmac_f16_e64 v164, 0xb461, v162
	v_mul_f16_e64 v167, 0x3836, v168
	v_add_f16_e64 v161, v170, v161
	v_add_f16_e32 v102, v102, v95
	v_add_f16_e64 v149, v169, v149
	v_add_f16_e64 v150, v164, v150
	v_fma_f16 v164, v162, 0x39e9, -v166
	v_fma_f16 v170, v162, 0xbacd, -v167
	v_fmac_f16_e64 v167, 0xbacd, v162
	v_mul_f16_e64 v169, 0xbb29, v168
	v_fmac_f16_e64 v166, 0x39e9, v162
	v_add_f16_e64 v154, v164, v154
	v_mul_f16_e64 v164, 0xb1e1, v168
	v_add_f16_e64 v151, v170, v151
	v_add_f16_e64 v152, v167, v152
	v_fma_f16 v167, v162, 0x3722, -v169
	v_add_f16_e64 v153, v166, v153
	v_mul_f16_e64 v166, 0x3bf7, v168
	v_fmac_f16_e64 v169, 0x3722, v162
	v_fma_f16 v170, v162, 0xbbdd, -v164
	v_fmac_f16_e64 v164, 0xbbdd, v162
	v_add_f16_e64 v156, v167, v156
	v_fma_f16 v167, v162, 0x2de8, -v166
	v_add_f16_e64 v155, v169, v155
	v_mul_f16_e64 v169, 0xb5c8, v168
	v_add_f16_e64 v157, v164, v157
	v_mul_f16_e64 v164, 0xba62, v168
	v_fmac_f16_e64 v166, 0x2de8, v162
	v_sub_f16_e64 v168, v67, v69
	v_add_f16_e64 v160, v170, v160
	v_add_f16_e64 v163, v167, v163
	v_fma_f16 v167, v162, 0x3b76, -v169
	v_fmac_f16_e64 v169, 0x3b76, v162
	v_fma_f16 v170, v162, 0xb8d2, -v164
	v_fmac_f16_e64 v164, 0xb8d2, v162
	v_add_f16_e64 v159, v166, v159
	v_add_f16_e64 v162, v74, v75
	v_mul_f16_e64 v166, 0xba62, v168
	v_add_f16_e64 v158, v169, v158
	v_add_f16_e64 v148, v164, v148
	v_mul_f16_e64 v164, 0xb5c8, v168
	v_add_f16_e64 v165, v167, v165
	v_fma_f16 v169, v162, 0xb8d2, -v166
	v_fmac_f16_e64 v166, 0xb8d2, v162
	v_mul_f16_e64 v167, 0x3bb2, v168
	v_add_f16_e64 v161, v170, v161
	v_add_f16_e32 v97, v97, v123
	v_add_f16_e64 v149, v169, v149
	v_add_f16_e64 v150, v166, v150
	v_fma_f16 v166, v162, 0x3b76, -v164
	v_fma_f16 v170, v162, 0xb461, -v167
	v_fmac_f16_e64 v167, 0xb461, v162
	v_mul_f16_e64 v169, 0xb836, v168
	v_fmac_f16_e64 v164, 0x3b76, v162
	v_add_f16_e64 v154, v166, v154
	v_mul_f16_e64 v166, 0x3bf7, v168
	v_add_f16_e64 v151, v170, v151
	v_add_f16_e64 v152, v167, v152
	v_fma_f16 v167, v162, 0xbacd, -v169
	v_add_f16_e64 v153, v164, v153
	v_mul_f16_e64 v164, 0xb964, v168
	v_fmac_f16_e64 v169, 0xbacd, v162
	v_fma_f16 v170, v162, 0x2de8, -v166
	v_fmac_f16_e64 v166, 0x2de8, v162
	v_add_f16_e64 v156, v167, v156
	v_fma_f16 v167, v162, 0x39e9, -v164
	v_add_f16_e64 v155, v169, v155
	v_mul_f16_e64 v169, 0xb1e1, v168
	v_add_f16_e64 v157, v166, v157
	v_mul_f16_e64 v166, 0x3b29, v168
	v_fmac_f16_e64 v164, 0x39e9, v162
	v_sub_f16_e64 v168, v63, v64
	v_add_f16_e64 v160, v170, v160
	v_add_f16_e64 v163, v167, v163
	v_fma_f16 v167, v162, 0xbbdd, -v169
	v_fmac_f16_e64 v169, 0xbbdd, v162
	v_fma_f16 v170, v162, 0x3722, -v166
	v_fmac_f16_e64 v166, 0x3722, v162
	v_add_f16_e64 v159, v164, v159
	v_add_f16_e64 v162, v70, v71
	v_mul_f16_e64 v164, 0xb836, v168
	v_add_f16_e64 v165, v167, v165
	v_add_f16_e64 v158, v169, v158
	v_mul_f16_e64 v167, 0x3b29, v168
	v_add_f16_e64 v148, v166, v148
	v_fma_f16 v169, v162, 0xbacd, -v164
	v_fmac_f16_e64 v164, 0xbacd, v162
	v_mul_f16_e64 v166, 0xbbf7, v168
	v_add_f16_e64 v161, v170, v161
	v_fma_f16 v170, v162, 0x3722, -v167
	v_add_f16_e64 v149, v169, v149
	v_add_f16_e64 v150, v164, v150
	v_fmac_f16_e64 v167, 0x3722, v162
	v_fma_f16 v164, v162, 0x2de8, -v166
	v_mul_f16_e64 v169, 0x3a62, v168
	v_fmac_f16_e64 v166, 0x2de8, v162
	v_add_f16_e32 v102, v102, v87
	v_add_f16_e64 v152, v167, v152
	v_add_f16_e64 v154, v164, v154
	v_mul_f16_e64 v164, 0xb5c8, v168
	v_fma_f16 v167, v162, 0xb8d2, -v169
	v_add_f16_e64 v153, v166, v153
	v_fmac_f16_e64 v169, 0xb8d2, v162
	v_mul_f16_e64 v166, 0xb1e1, v168
	v_add_f16_e32 v97, v97, v120
	v_add_f16_e32 v102, v102, v84
	v_add_f16_e64 v151, v170, v151
	v_fma_f16 v170, v162, 0x3b76, -v164
	v_add_f16_e64 v156, v167, v156
	v_fmac_f16_e64 v164, 0x3b76, v162
	v_add_f16_e64 v155, v169, v155
	v_fma_f16 v167, v162, 0xbbdd, -v166
	v_mul_f16_e64 v169, 0x3964, v168
	v_add_f16_e32 v97, v97, v115
	v_add_f16_e32 v102, v102, v81
	v_add_f16_e64 v157, v164, v157
	v_mul_f16_e64 v164, 0xbbb2, v168
	v_add_f16_e64 v163, v167, v163
	v_fma_f16 v167, v162, 0x39e9, -v169
	v_add_f16_e32 v97, v97, v111
	v_add_f16_e32 v102, v102, v77
	v_fmac_f16_e64 v166, 0xbbdd, v162
	v_fmac_f16_e64 v169, 0x39e9, v162
	v_fma_f16 v168, v162, 0xb461, -v164
	v_fmac_f16_e64 v164, 0xb461, v162
	v_add_f16_e64 v162, v167, v165
	v_sub_f16_e64 v165, v61, v62
	v_add_f16_e32 v97, v97, v109
	v_add_f16_e32 v102, v102, v74
	v_add_f16_e64 v159, v166, v159
	v_add_f16_e64 v166, v65, v66
	v_mul_f16_e64 v167, 0xb1e1, v165
	v_add_f16_e32 v97, v97, v105
	v_add_f16_e32 v102, v102, v70
	v_add_f16_e64 v161, v168, v161
	v_add_f16_e64 v148, v164, v148
	v_fma_f16 v164, v166, 0xbbdd, -v167
	v_fmac_f16_e64 v167, 0xbbdd, v166
	v_mul_f16_e64 v168, 0x35c8, v165
	v_add_f16_e32 v97, v97, v99
	v_add_f16_e32 v102, v102, v65
	v_add_f16_e64 v149, v164, v149
	v_add_f16_e64 v150, v167, v150
	v_fma_f16 v164, v166, 0x3b76, -v168
	v_fmac_f16_e64 v168, 0x3b76, v166
	;; [unrolled: 7-line block ×4, first 2 shown]
	v_mul_f16_e64 v167, 0xba62, v165
	v_add_f16_e32 v97, v97, v103
	v_add_f16_e32 v102, v102, v75
	v_add_f16_e64 v160, v170, v160
	v_add_f16_e64 v156, v164, v156
	;; [unrolled: 1-line block ×3, first 2 shown]
	v_fma_f16 v164, v166, 0xb8d2, -v167
	v_fmac_f16_e64 v167, 0xb8d2, v166
	v_mul_f16_e64 v168, 0x3b29, v165
	v_add_f16_e32 v97, v97, v108
	v_add_f16_e32 v102, v102, v79
	v_add_f16_e64 v160, v164, v160
	v_add_f16_e64 v157, v167, v157
	v_fma_f16 v164, v166, 0x3722, -v168
	v_add_f16_e32 v97, v97, v113
	v_mul_f16_e64 v167, 0xbbb2, v165
	v_add_f16_e32 v102, v102, v83
	v_mul_f16_e64 v165, 0x3bf7, v165
	v_add_f16_e64 v163, v164, v163
	v_add_f16_e32 v97, v97, v117
	v_fma_f16 v164, v166, 0xb461, -v167
	v_add_f16_e32 v102, v102, v88
	v_add_f16_e64 v158, v169, v158
	v_fmac_f16_e64 v167, 0xb461, v166
	v_add_f16_e32 v97, v97, v121
	v_add_f16_e64 v162, v164, v162
	v_fma_f16 v164, v166, 0x2de8, -v165
	v_add_f16_e32 v102, v102, v96
	v_fmac_f16_e64 v165, 0x2de8, v166
	v_add_f16_e32 v97, v97, v126
	v_fmac_f16_e64 v168, 0x3722, v166
	v_add_f16_e64 v161, v164, v161
	v_add_f16_e64 v164, v102, v100
	v_mad_u32_u24 v102, 0xee, v128, 0
	v_lshlrev_b32_e32 v128, 1, v131
	v_add_f16_e32 v97, v97, v127
	v_add_f16_e64 v131, v165, v148
	v_add_f16_e64 v158, v167, v158
	;; [unrolled: 1-line block ×3, first 2 shown]
	v_add3_u32 v102, v102, v128, v22
	v_mad_u32_u24 v128, 0xee, v129, 0
	v_lshlrev_b32_e32 v129, 1, v130
	ds_store_b16 v102, v97
	ds_store_b16 v102, v133 offset:14
	ds_store_b16 v102, v136 offset:28
	;; [unrolled: 1-line block ×7, first 2 shown]
	v_add3_u32 v97, v128, v129, v22
	ds_store_b16 v102, v146 offset:112
	ds_store_b16 v102, v147 offset:126
	;; [unrolled: 1-line block ×9, first 2 shown]
	ds_store_b16 v97, v164
	ds_store_b16 v97, v149 offset:14
	ds_store_b16 v97, v151 offset:28
	ds_store_b16 v97, v154 offset:42
	ds_store_b16 v97, v156 offset:56
	ds_store_b16 v97, v160 offset:70
	ds_store_b16 v97, v163 offset:84
	ds_store_b16 v97, v162 offset:98
	v_lshlrev_b32_e32 v19, 1, v132
	ds_store_b16 v97, v161 offset:112
	ds_store_b16 v97, v131 offset:126
	;; [unrolled: 1-line block ×9, first 2 shown]
	s_and_saveexec_b32 s1, s0
	s_cbranch_execz .LBB0_18
; %bb.17:
	v_sub_f16_e64 v143, v58, v56
	v_add_f16_e64 v135, v60, v18
	v_sub_f16_e64 v141, v57, v55
	v_add_f16_e64 v133, v16, v17
	v_sub_f16_e64 v142, v53, v54
	v_mul_f16_e64 v145, 0xb1e1, v143
	v_add_f16_e64 v134, v10, v11
	v_mul_f16_e64 v146, 0x35c8, v141
	v_sub_f16_e64 v139, v50, v52
	v_mul_f16_e64 v147, 0xb836, v142
	v_fma_f16 v157, 0xbbdd, v135, v145
	v_fma_f16 v145, v135, 0xbbdd, -v145
	v_fma_f16 v158, 0x3b76, v133, v146
	v_add_f16_e64 v131, v8, v9
	v_mul_f16_e64 v148, 0x3964, v139
	v_add_f16_e64 v157, v59, v157
	v_mul_f16_e64 v153, 0xb836, v143
	v_fma_f16 v159, 0xbacd, v134, v147
	v_fma_f16 v146, v133, 0x3b76, -v146
	v_add_f16_e64 v145, v59, v145
	v_add_f16_e64 v157, v158, v157
	v_sub_f16_e64 v140, v48, v49
	v_mul_f16_e64 v154, 0x3b29, v141
	v_fma_f16 v160, 0x39e9, v131, v148
	v_fma_f16 v147, v134, 0xbacd, -v147
	v_add_f16_e64 v157, v159, v157
	v_fma_f16 v158, 0xbacd, v135, v153
	v_add_f16_e64 v145, v146, v145
	v_add_f16_e64 v128, v59, v60
	;; [unrolled: 1-line block ×3, first 2 shown]
	v_sub_f16_e64 v137, v46, v47
	v_mul_f16_e64 v149, 0xba62, v140
	v_mul_f16_e64 v155, 0xbbf7, v142
	v_fma_f16 v148, v131, 0x39e9, -v148
	v_add_f16_e64 v146, v160, v157
	v_fma_f16 v157, 0x3722, v133, v154
	v_add_f16_e64 v158, v59, v158
	v_add_f16_e64 v145, v147, v145
	;; [unrolled: 1-line block ×4, first 2 shown]
	v_sub_f16_e64 v138, v14, v15
	v_mul_f16_e64 v150, 0x3b29, v137
	v_mul_f16_e64 v156, 0x3a62, v139
	v_fma_f16 v161, 0xb8d2, v132, v149
	v_fma_f16 v149, v132, 0xb8d2, -v149
	v_fma_f16 v147, 0x2de8, v134, v155
	v_add_f16_e64 v157, v157, v158
	v_add_f16_e64 v145, v148, v145
	;; [unrolled: 1-line block ×4, first 2 shown]
	v_sub_f16_e64 v136, v12, v13
	v_mul_f16_e64 v151, 0xbbb2, v138
	v_fma_f16 v162, 0x3722, v129, v150
	v_fma_f16 v150, v129, 0x3722, -v150
	v_add_f16_e64 v146, v161, v146
	v_fma_f16 v148, 0xb8d2, v131, v156
	v_add_f16_e64 v147, v147, v157
	v_add_f16_e64 v145, v149, v145
	v_mul_f16_e64 v149, 0xb5c8, v140
	v_add_f16_e64 v144, v128, v8
	v_add_f16_e64 v128, v0, v1
	v_mul_f16_e64 v152, 0x3bf7, v136
	v_fma_f16 v163, 0xb461, v130, v151
	v_add_f16_e64 v146, v162, v146
	v_add_f16_e64 v145, v150, v145
	v_fma_f16 v150, v130, 0xb461, -v151
	v_add_f16_e64 v147, v148, v147
	v_fma_f16 v148, 0x3b76, v132, v149
	v_mul_f16_e64 v151, 0xb1e1, v137
	v_fma_f16 v153, v135, 0xbacd, -v153
	v_add_f16_e64 v146, v163, v146
	v_fma_f16 v157, 0x2de8, v128, v152
	v_add_f16_e64 v145, v150, v145
	v_add_f16_e64 v147, v148, v147
	v_fma_f16 v148, 0xbbdd, v129, v151
	v_mul_f16_e64 v150, 0x3964, v138
	v_add_f16_e64 v153, v59, v153
	v_fma_f16 v154, v133, 0x3722, -v154
	v_add_f16_e64 v146, v157, v146
	v_fma_f16 v152, v128, 0x2de8, -v152
	v_add_f16_e64 v147, v148, v147
	v_fma_f16 v148, 0x39e9, v130, v150
	v_mul_f16_e64 v157, 0xba62, v143
	v_add_f16_e64 v153, v154, v153
	v_fma_f16 v154, v134, 0x2de8, -v155
	v_add_f16_e64 v145, v152, v145
	v_add_f16_e64 v147, v148, v147
	v_fma_f16 v148, 0xb8d2, v135, v157
	v_mul_f16_e64 v152, 0x3bb2, v141
	v_add_f16_e64 v153, v154, v153
	v_fma_f16 v154, v131, 0xb8d2, -v156
	v_mul_f16_e64 v155, 0xbbb2, v136
	v_add_f16_e64 v148, v59, v148
	v_fma_f16 v156, 0xb461, v133, v152
	v_mul_f16_e64 v158, 0xb5c8, v142
	v_add_f16_e64 v153, v154, v153
	v_fma_f16 v149, v132, 0x3b76, -v149
	v_fma_f16 v154, 0xb461, v128, v155
	v_add_f16_e64 v148, v156, v148
	v_fma_f16 v156, 0x3b76, v134, v158
	v_mul_f16_e64 v159, 0xb836, v139
	v_add_f16_e64 v149, v149, v153
	v_fma_f16 v151, v129, 0xbbdd, -v151
	v_add_f16_e64 v147, v154, v147
	v_add_f16_e64 v148, v156, v148
	v_fma_f16 v153, 0xbacd, v131, v159
	v_mul_f16_e64 v154, 0x3bf7, v140
	v_add_f16_e64 v149, v151, v149
	v_fma_f16 v150, v130, 0x39e9, -v150
	v_fma_f16 v151, v135, 0xb8d2, -v157
	v_add_f16_e64 v148, v153, v148
	v_fma_f16 v153, 0x2de8, v132, v154
	v_mul_f16_e64 v156, 0xb964, v137
	v_add_f16_e64 v149, v150, v149
	v_add_f16_e64 v150, v59, v151
	v_fma_f16 v151, v133, 0xb461, -v152
	v_add_f16_e64 v148, v153, v148
	v_fma_f16 v152, 0x39e9, v129, v156
	v_mul_f16_e64 v153, 0xb1e1, v138
	v_fma_f16 v155, v128, 0xb461, -v155
	v_add_f16_e64 v150, v151, v150
	v_fma_f16 v151, v134, 0x3b76, -v158
	v_add_f16_e64 v148, v152, v148
	v_fma_f16 v152, 0xbbdd, v130, v153
	v_mul_f16_e64 v157, 0xbbb2, v143
	v_add_f16_e64 v149, v155, v149
	v_add_f16_e64 v150, v151, v150
	v_fma_f16 v151, v131, 0xbacd, -v159
	v_add_f16_e64 v148, v152, v148
	v_fma_f16 v152, 0xb461, v135, v157
	v_mul_f16_e64 v155, 0x3836, v141
	v_mul_f16_e64 v159, 0x3964, v142
	v_add_f16_e64 v150, v151, v150
	v_fma_f16 v151, v132, 0x2de8, -v154
	v_add_f16_e64 v152, v59, v152
	v_fma_f16 v154, 0xbacd, v133, v155
	v_mul_f16_e64 v158, 0x3b29, v136
	v_fma_f16 v153, v130, 0xbbdd, -v153
	v_add_f16_e64 v150, v151, v150
	v_fma_f16 v151, v129, 0x39e9, -v156
	v_add_f16_e64 v152, v154, v152
	v_fma_f16 v154, 0x39e9, v134, v159
	v_mul_f16_e64 v156, 0xbb29, v139
	v_fma_f16 v160, 0x3722, v128, v158
	v_add_f16_e64 v150, v151, v150
	v_fma_f16 v151, v135, 0xb461, -v157
	v_add_f16_e64 v152, v154, v152
	v_fma_f16 v154, 0x3722, v131, v156
	v_mul_f16_e64 v157, 0xb1e1, v140
	v_fma_f16 v155, v133, 0xbacd, -v155
	v_add_f16_e64 v151, v59, v151
	v_add_f16_e64 v148, v160, v148
	;; [unrolled: 1-line block ×3, first 2 shown]
	v_fma_f16 v154, 0xbbdd, v132, v157
	v_mul_f16_e64 v160, 0x3bf7, v137
	v_add_f16_e64 v150, v153, v150
	v_add_f16_e64 v151, v155, v151
	v_fma_f16 v153, v134, 0x39e9, -v159
	v_add_f16_e64 v152, v154, v152
	v_fma_f16 v154, 0x2de8, v129, v160
	v_mul_f16_e64 v155, 0xb5c8, v138
	v_fma_f16 v158, v128, 0x3722, -v158
	v_add_f16_e64 v151, v153, v151
	v_fma_f16 v153, v131, 0x3722, -v156
	v_add_f16_e64 v152, v154, v152
	v_fma_f16 v154, 0x3b76, v130, v155
	v_mul_f16_e64 v156, 0xbbf7, v143
	v_add_f16_e64 v150, v158, v150
	v_add_f16_e64 v151, v153, v151
	v_fma_f16 v153, v132, 0xbbdd, -v157
	v_add_f16_e64 v152, v154, v152
	v_fma_f16 v154, 0x2de8, v135, v156
	v_mul_f16_e64 v157, 0xb1e1, v141
	v_mul_f16_e64 v158, 0xba62, v136
	v_add_f16_e64 v151, v153, v151
	v_fma_f16 v153, v129, 0x2de8, -v160
	v_add_f16_e64 v154, v59, v154
	v_fma_f16 v159, 0xbbdd, v133, v157
	v_mul_f16_e64 v160, 0x3bb2, v142
	v_fma_f16 v161, 0xb8d2, v128, v158
	v_add_f16_e64 v151, v153, v151
	v_fma_f16 v153, v130, 0x3b76, -v155
	v_add_f16_e64 v154, v159, v154
	v_fma_f16 v155, 0xb461, v134, v160
	v_mul_f16_e64 v159, 0x35c8, v139
	v_fma_f16 v157, v133, 0xbbdd, -v157
	v_add_f16_e64 v151, v153, v151
	v_fma_f16 v153, v135, 0x2de8, -v156
	v_add_f16_e64 v154, v155, v154
	v_fma_f16 v155, 0x3b76, v131, v159
	v_mul_f16_e64 v156, 0xbb29, v140
	v_add_f16_e64 v152, v161, v152
	v_add_f16_e64 v153, v59, v153
	v_fma_f16 v158, v128, 0xb8d2, -v158
	v_add_f16_e64 v154, v155, v154
	v_fma_f16 v155, 0x3722, v132, v156
	v_mul_f16_e64 v161, 0xb836, v137
	v_add_f16_e64 v153, v157, v153
	v_fma_f16 v157, v134, 0xb461, -v160
	v_add_f16_e64 v151, v158, v151
	v_add_f16_e64 v154, v155, v154
	v_fma_f16 v155, 0xbacd, v129, v161
	v_mul_f16_e64 v158, 0xbb29, v143
	v_add_f16_e64 v153, v157, v153
	v_fma_f16 v157, v131, 0x3b76, -v159
	v_mul_f16_e64 v160, 0x3a62, v138
	v_add_f16_e64 v154, v155, v154
	v_fma_f16 v155, 0x3722, v135, v158
	v_mul_f16_e64 v159, 0xba62, v141
	v_add_f16_e64 v153, v157, v153
	v_fma_f16 v156, v132, 0x3722, -v156
	v_fma_f16 v162, 0xb8d2, v130, v160
	v_add_f16_e64 v155, v59, v155
	v_fma_f16 v157, 0xb8d2, v133, v159
	v_mul_f16_e64 v163, 0x31e1, v142
	v_add_f16_e64 v153, v156, v153
	v_fma_f16 v156, v129, 0xbacd, -v161
	v_add_f16_e64 v154, v162, v154
	v_add_f16_e64 v155, v157, v155
	v_fma_f16 v157, 0xbbdd, v134, v163
	v_mul_f16_e64 v161, 0x3bb2, v139
	v_mul_f16_e64 v162, 0x3964, v136
	v_add_f16_e64 v153, v156, v153
	v_fma_f16 v156, v130, 0xb8d2, -v160
	v_add_f16_e64 v155, v157, v155
	v_fma_f16 v157, 0xb461, v131, v161
	v_mul_f16_e64 v160, 0x3964, v140
	v_fma_f16 v164, 0x39e9, v128, v162
	v_add_f16_e64 v153, v156, v153
	v_fma_f16 v156, v128, 0x39e9, -v162
	v_add_f16_e64 v155, v157, v155
	v_fma_f16 v157, 0x39e9, v132, v160
	v_mul_f16_e64 v162, 0xb5c8, v137
	v_add_f16_e64 v154, v164, v154
	v_add_f16_e64 v153, v156, v153
	v_fma_f16 v156, v135, 0x3722, -v158
	v_add_f16_e64 v155, v157, v155
	v_fma_f16 v157, 0x3b76, v129, v162
	v_mul_f16_e64 v158, 0xbbf7, v138
	v_mul_f16_e64 v164, 0xb964, v143
	v_add_f16_e64 v156, v59, v156
	v_fma_f16 v159, v133, 0xb8d2, -v159
	v_add_f16_e64 v155, v157, v155
	v_fma_f16 v157, 0x2de8, v130, v158
	v_fma_f16 v165, 0x39e9, v135, v164
	v_mul_f16_e64 v166, 0xbbf7, v141
	v_add_f16_e64 v156, v159, v156
	v_fma_f16 v159, v134, 0xbbdd, -v163
	v_add_f16_e64 v155, v157, v155
	v_add_f16_e64 v157, v59, v165
	v_fma_f16 v163, 0x2de8, v133, v166
	v_mul_f16_e64 v165, 0xba62, v142
	v_add_f16_e64 v156, v159, v156
	v_fma_f16 v159, v131, 0xb461, -v161
	v_mul_f16_e64 v161, 0xb836, v136
	v_add_f16_e64 v157, v163, v157
	v_fma_f16 v163, 0xb8d2, v134, v165
	v_mul_f16_e64 v167, 0xb1e1, v139
	v_add_f16_e64 v156, v159, v156
	v_fma_f16 v159, v132, 0x39e9, -v160
	v_fma_f16 v160, 0xbacd, v128, v161
	v_add_f16_e64 v157, v163, v157
	v_fma_f16 v163, 0xbbdd, v131, v167
	v_mul_f16_e64 v168, 0x3836, v140
	v_add_f16_e64 v156, v159, v156
	v_fma_f16 v159, v129, 0x3b76, -v162
	v_add_f16_e64 v144, v144, v6
	v_add_f16_e64 v155, v160, v155
	;; [unrolled: 1-line block ×3, first 2 shown]
	v_fma_f16 v160, 0xbacd, v132, v168
	v_mul_f16_e64 v162, 0x3bb2, v137
	v_add_f16_e64 v156, v159, v156
	v_fma_f16 v159, v135, 0x39e9, -v164
	v_add_f16_e64 v144, v144, v4
	v_fma_f16 v158, v130, 0x2de8, -v158
	v_add_f16_e64 v157, v160, v157
	v_fma_f16 v160, 0xb461, v129, v162
	v_mul_f16_e64 v163, 0x3b29, v138
	v_add_f16_e64 v159, v59, v159
	v_fma_f16 v164, v133, 0x2de8, -v166
	v_add_f16_e64 v144, v144, v2
	v_add_f16_e64 v156, v158, v156
	v_fma_f16 v158, v128, 0xbacd, -v161
	v_add_f16_e64 v157, v160, v157
	v_fma_f16 v160, 0x3722, v130, v163
	v_add_f16_e64 v159, v164, v159
	v_fma_f16 v161, v134, 0xb8d2, -v165
	v_mul_f16_e64 v143, 0xb5c8, v143
	v_add_f16_e64 v144, v144, v0
	v_add_f16_e64 v157, v160, v157
	v_fma_f16 v160, v131, 0xbbdd, -v167
	v_add_f16_e64 v159, v161, v159
	v_fma_f16 v161, v135, 0x3b76, -v143
	v_mul_f16_e64 v141, 0xb964, v141
	v_add_f16_e64 v144, v144, v1
	v_fma_f16 v135, 0x3b76, v135, v143
	v_add_f16_e64 v143, v160, v159
	v_add_f16_e64 v159, v59, v161
	v_fma_f16 v160, v133, 0x39e9, -v141
	v_mul_f16_e64 v142, 0xbb29, v142
	v_add_f16_e64 v144, v144, v3
	v_add_f16_e64 v59, v59, v135
	v_fma_f16 v133, 0x39e9, v133, v141
	v_fma_f16 v135, v132, 0xbacd, -v168
	v_add_f16_e64 v141, v160, v159
	v_fma_f16 v159, v134, 0x3722, -v142
	v_mul_f16_e64 v139, 0xbbf7, v139
	v_add_f16_e64 v144, v144, v5
	v_add_f16_e64 v59, v133, v59
	v_fma_f16 v133, 0x3722, v134, v142
	v_add_f16_e64 v134, v135, v143
	v_add_f16_e64 v135, v159, v141
	v_fma_f16 v141, v131, 0x2de8, -v139
	v_mul_f16_e64 v140, 0xbbb2, v140
	v_add_f16_e64 v144, v144, v7
	v_add_f16_e64 v59, v133, v59
	v_fma_f16 v131, 0x2de8, v131, v139
	v_fma_f16 v133, v129, 0xb461, -v162
	v_add_f16_e64 v135, v141, v135
	v_fma_f16 v139, v132, 0xb461, -v140
	v_mul_f16_e64 v137, 0xba62, v137
	v_add_f16_e64 v144, v144, v9
	v_add_f16_e64 v59, v131, v59
	v_fma_f16 v131, 0xb461, v132, v140
	v_add_f16_e64 v132, v133, v134
	v_add_f16_e64 v133, v139, v135
	v_fma_f16 v134, v129, 0xb8d2, -v137
	v_mul_f16_e64 v135, 0xb836, v138
	v_add_f16_e64 v144, v144, v11
	v_add_f16_e64 v59, v131, v59
	v_fma_f16 v129, 0xb8d2, v129, v137
	v_add_f16_e64 v156, v158, v156
	v_mul_f16_e64 v158, 0x35c8, v136
	v_fma_f16 v131, v130, 0x3722, -v163
	v_add_f16_e64 v133, v134, v133
	v_fma_f16 v134, v130, 0xbacd, -v135
	v_mul_f16_e64 v136, 0xb1e1, v136
	v_add_f16_e64 v144, v144, v17
	v_add_f16_e64 v59, v129, v59
	v_fma_f16 v129, 0xbacd, v130, v135
	v_add_f16_e64 v130, v131, v132
	v_add_f16_e64 v131, v134, v133
	v_fma_f16 v132, v128, 0xbbdd, -v136
	v_fma_f16 v133, v128, 0x3b76, -v158
	v_add_f16_e64 v144, v144, v18
	v_fma_f16 v164, 0x3b76, v128, v158
	v_add_f16_e64 v59, v129, v59
	v_fma_f16 v128, 0xbbdd, v128, v136
	v_add3_u32 v129, 0, v19, v22
	v_add_f16_e64 v131, v132, v131
	v_add_f16_e64 v130, v133, v130
	;; [unrolled: 1-line block ×4, first 2 shown]
	ds_store_b16 v129, v144 offset:952
	ds_store_b16 v129, v131 offset:966
	ds_store_b16 v129, v130 offset:980
	ds_store_b16 v129, v156 offset:994
	ds_store_b16 v129, v153 offset:1008
	ds_store_b16 v129, v151 offset:1022
	ds_store_b16 v129, v150 offset:1036
	ds_store_b16 v129, v149 offset:1050
	ds_store_b16 v129, v145 offset:1064
	ds_store_b16 v129, v146 offset:1078
	ds_store_b16 v129, v147 offset:1092
	ds_store_b16 v129, v148 offset:1106
	ds_store_b16 v129, v152 offset:1120
	ds_store_b16 v129, v154 offset:1134
	ds_store_b16 v129, v155 offset:1148
	ds_store_b16 v129, v132 offset:1162
	ds_store_b16 v129, v59 offset:1176
.LBB0_18:
	s_wait_alu 0xfffe
	s_or_b32 exec_lo, exec_lo, s1
	v_add_f16_e32 v59, v68, v122
	v_sub_f16_e32 v123, v123, v127
	v_add_f16_e32 v122, v122, v124
	v_add_f16_e32 v127, v118, v125
	v_sub_f16_e32 v120, v120, v126
	v_add_f16_e32 v59, v59, v118
	v_mul_f16_e32 v118, 0xb5c8, v123
	v_mul_f16_e32 v126, 0xb964, v123
	v_mul_f16_e64 v128, 0xbb29, v123
	v_mul_f16_e64 v129, 0xbbf7, v123
	v_add_f16_e32 v59, v59, v114
	v_mul_f16_e64 v130, 0xbbb2, v123
	v_mul_f16_e64 v131, 0xba62, v123
	v_mul_f16_e64 v132, 0xb836, v123
	v_mul_f16_e32 v123, 0xb1e1, v123
	v_add_f16_e32 v59, v59, v110
	v_mul_f16_e64 v133, 0xb964, v120
	v_mul_f16_e64 v134, 0xbbf7, v120
	;; [unrolled: 1-line block ×3, first 2 shown]
	v_fma_f16 v138, 0x3b76, v122, v118
	v_add_f16_e32 v59, v59, v107
	v_fma_f16 v118, v122, 0x3b76, -v118
	v_fma_f16 v139, 0x39e9, v122, v126
	v_fma_f16 v126, v122, 0x39e9, -v126
	v_fma_f16 v140, 0x3722, v122, v128
	v_add_f16_e32 v59, v59, v104
	v_fma_f16 v128, v122, 0x3722, -v128
	v_mul_f16_e64 v136, 0xb1e1, v120
	v_mul_f16_e64 v137, 0x3836, v120
	v_fma_f16 v141, 0x2de8, v122, v129
	v_add_f16_e32 v59, v59, v98
	v_fma_f16 v129, v122, 0x2de8, -v129
	v_fma_f16 v142, 0xb461, v122, v130
	v_fma_f16 v130, v122, 0xb461, -v130
	v_fma_f16 v143, 0xb8d2, v122, v131
	v_add_f16_e32 v59, v59, v90
	v_fma_f16 v131, v122, 0xb8d2, -v131
	v_fma_f16 v144, 0xbacd, v122, v132
	v_fma_f16 v132, v122, 0xbacd, -v132
	;; [unrolled: 5-line block ×4, first 2 shown]
	v_add_f16_e64 v138, v68, v138
	v_add_f16_e32 v59, v59, v106
	v_add_f16_e32 v118, v68, v118
	;; [unrolled: 1-line block ×3, first 2 shown]
	v_add_f16_e64 v128, v68, v128
	v_add_f16_e64 v139, v68, v139
	v_add_f16_e32 v59, v59, v112
	v_add_f16_e64 v140, v68, v140
	v_add_f16_e64 v141, v68, v141
	v_add_f16_e64 v129, v68, v129
	v_add_f16_e64 v142, v68, v142
	v_add_f16_e32 v59, v59, v116
	v_add_f16_e64 v130, v68, v130
	v_add_f16_e64 v143, v68, v143
	;; [unrolled: 5-line block ×3, first 2 shown]
	v_add_f16_e32 v68, v68, v122
	v_add_f16_e64 v122, v123, v138
	v_add_f16_e32 v59, v59, v125
	v_add_f16_e64 v123, v133, v118
	v_add_f16_e64 v126, v134, v126
	v_mul_f16_e64 v134, 0x3bb2, v120
	v_sub_f16_e32 v115, v115, v121
	v_add_f16_e32 v118, v59, v124
	v_fma_f16 v59, 0xbbdd, v127, v136
	v_add_f16_e64 v124, v135, v128
	v_fma_f16 v128, v127, 0xbbdd, -v136
	v_fma_f16 v136, v127, 0xbacd, -v137
	v_add_f16_e32 v114, v114, v119
	v_mul_f16_e32 v119, 0xbb29, v115
	v_fma_f16 v135, 0xbacd, v127, v137
	v_add_f16_e64 v128, v128, v129
	v_fma_f16 v129, 0xb461, v127, v134
	v_fma_f16 v134, v127, 0xb461, -v134
	v_add_f16_e64 v130, v136, v130
	v_mul_f16_e64 v136, 0x3b29, v120
	v_mul_f16_e32 v120, 0x35c8, v120
	v_mul_f16_e64 v137, 0x3bb2, v115
	v_add_f16_e64 v131, v134, v131
	v_add_f16_e64 v125, v146, v139
	v_fma_f16 v121, 0x3722, v127, v136
	v_fma_f16 v134, v127, 0x3722, -v136
	v_fma_f16 v136, 0x3b76, v127, v120
	v_fma_f16 v120, v127, 0x3b76, -v120
	v_add_f16_e64 v133, v147, v140
	v_add_f16_e64 v59, v59, v141
	;; [unrolled: 1-line block ×4, first 2 shown]
	v_fma_f16 v134, 0x3722, v114, v119
	v_mul_f16_e64 v136, 0xba62, v115
	v_add_f16_e32 v68, v120, v68
	v_fma_f16 v119, v114, 0x3722, -v119
	v_mul_f16_e32 v120, 0x31e1, v115
	v_add_f16_e64 v122, v134, v122
	v_fma_f16 v134, 0xb8d2, v114, v136
	v_fma_f16 v136, v114, 0xb8d2, -v136
	v_add_f16_e32 v119, v119, v123
	v_fmamk_f16 v123, v114, 0xbbdd, v120
	v_fma_f16 v120, v114, 0xbbdd, -v120
	v_add_f16_e64 v125, v134, v125
	v_add_f16_e64 v126, v136, v126
	v_fma_f16 v136, v114, 0xb461, -v137
	v_add_f16_e64 v123, v123, v133
	v_add_f16_e32 v120, v120, v124
	v_mul_f16_e32 v124, 0xb5c8, v115
	v_fma_f16 v133, 0xb461, v114, v137
	v_mul_f16_e64 v134, 0x3964, v115
	v_add_f16_e64 v128, v136, v128
	v_mul_f16_e64 v137, 0xbbf7, v115
	v_fma_f16 v136, 0x3b76, v114, v124
	v_fma_f16 v124, v114, 0x3b76, -v124
	v_mul_f16_e32 v115, 0xb836, v115
	v_sub_f16_e32 v111, v111, v117
	v_add_f16_e64 v59, v133, v59
	v_fma_f16 v133, 0x39e9, v114, v134
	v_fma_f16 v134, v114, 0x39e9, -v134
	v_add_f16_e64 v124, v124, v131
	v_fma_f16 v117, v114, 0x2de8, -v137
	v_fma_f16 v131, 0xbacd, v114, v115
	v_add_f16_e32 v110, v110, v116
	v_mul_f16_e32 v116, 0xbbf7, v111
	v_add_f16_e64 v130, v134, v130
	v_fma_f16 v134, 0x2de8, v114, v137
	v_add_f16_e32 v117, v117, v127
	v_fma_f16 v114, v114, 0xbacd, -v115
	v_add_f16_e64 v115, v131, v132
	v_mul_f16_e32 v127, 0xb1e1, v111
	v_fma_f16 v131, 0x2de8, v110, v116
	v_fma_f16 v116, v110, 0x2de8, -v116
	v_add_f16_e32 v68, v114, v68
	v_mul_f16_e32 v114, 0x3bb2, v111
	v_fma_f16 v132, 0xbbdd, v110, v127
	v_add_f16_e64 v122, v131, v122
	v_add_f16_e32 v116, v116, v119
	v_fma_f16 v119, v110, 0xbbdd, -v127
	v_fmamk_f16 v127, v110, 0xb461, v114
	v_mul_f16_e64 v131, 0x35c8, v111
	v_fma_f16 v114, v110, 0xb461, -v114
	v_add_f16_e64 v129, v129, v143
	v_add_f16_e32 v119, v119, v126
	v_mul_f16_e32 v126, 0xbb29, v111
	v_add_f16_e64 v125, v132, v125
	v_add_f16_e32 v123, v127, v123
	v_fma_f16 v127, 0x3b76, v110, v131
	v_add_f16_e32 v114, v114, v120
	v_fma_f16 v120, v110, 0x3b76, -v131
	v_mul_f16_e64 v131, 0xb836, v111
	v_fma_f16 v132, 0x3722, v110, v126
	v_fma_f16 v126, v110, 0x3722, -v126
	v_add_f16_e64 v121, v121, v144
	v_add_f16_e64 v129, v136, v129
	v_add_f16_e32 v59, v127, v59
	v_fma_f16 v127, 0xbacd, v110, v131
	v_add_f16_e64 v126, v126, v130
	v_mul_f16_e64 v130, 0x3a62, v111
	v_mul_f16_e32 v111, 0x3964, v111
	v_sub_f16_e32 v109, v109, v113
	v_add_f16_e64 v121, v134, v121
	v_fma_f16 v131, v110, 0xbacd, -v131
	v_add_f16_e64 v127, v127, v129
	v_fma_f16 v113, 0xb8d2, v110, v130
	v_fma_f16 v129, v110, 0xb8d2, -v130
	v_fma_f16 v130, 0x39e9, v110, v111
	v_add_f16_e32 v107, v107, v112
	v_mul_f16_e32 v112, 0xbbb2, v109
	v_fma_f16 v110, v110, 0x39e9, -v111
	v_add_f16_e32 v113, v113, v121
	v_add_f16_e64 v111, v130, v115
	v_mul_f16_e32 v121, 0x3836, v109
	v_fmamk_f16 v115, v107, 0xb461, v112
	v_fma_f16 v112, v107, 0xb461, -v112
	v_add_f16_e32 v68, v110, v68
	v_mul_f16_e32 v110, 0x3964, v109
	v_add_f16_e64 v117, v129, v117
	v_add_f16_e32 v115, v115, v122
	v_fmamk_f16 v122, v107, 0xbacd, v121
	v_add_f16_e32 v112, v112, v116
	v_fma_f16 v116, v107, 0xbacd, -v121
	v_fmamk_f16 v121, v107, 0x39e9, v110
	v_mul_f16_e64 v129, 0xbb29, v109
	v_fma_f16 v110, v107, 0x39e9, -v110
	v_add_f16_e64 v120, v120, v128
	v_add_f16_e32 v116, v116, v119
	v_add_f16_e32 v119, v121, v123
	v_fma_f16 v121, 0x3722, v107, v129
	v_mul_f16_e32 v123, 0xb1e1, v109
	v_add_f16_e32 v122, v122, v125
	v_add_f16_e32 v110, v110, v114
	v_fma_f16 v114, v107, 0x3722, -v129
	v_mul_f16_e32 v125, 0x3bf7, v109
	v_add_f16_e32 v59, v121, v59
	v_fmamk_f16 v121, v107, 0xbbdd, v123
	v_fma_f16 v123, v107, 0xbbdd, -v123
	v_add_f16_e64 v124, v131, v124
	v_add_f16_e32 v114, v114, v120
	v_fmamk_f16 v120, v107, 0x2de8, v125
	v_fma_f16 v125, v107, 0x2de8, -v125
	v_add_f16_e32 v123, v123, v126
	v_mul_f16_e32 v126, 0xb5c8, v109
	v_sub_f16_e32 v105, v105, v108
	v_mul_f16_e32 v108, 0xba62, v109
	v_add_f16_e32 v124, v125, v124
	v_add_f16_e32 v104, v104, v106
	v_fmamk_f16 v109, v107, 0x3b76, v126
	v_fma_f16 v125, v107, 0x3b76, -v126
	v_mul_f16_e32 v106, 0xba62, v105
	v_add_f16_e64 v135, v135, v142
	v_fmamk_f16 v126, v107, 0xb8d2, v108
	v_add_f16_e32 v109, v109, v113
	v_fma_f16 v107, v107, 0xb8d2, -v108
	v_add_f16_e32 v108, v125, v117
	v_fmamk_f16 v113, v104, 0xb8d2, v106
	v_mul_f16_e32 v117, 0x3bb2, v105
	v_fma_f16 v106, v104, 0xb8d2, -v106
	v_add_f16_e64 v133, v133, v135
	v_add_f16_e32 v68, v107, v68
	v_add_f16_e32 v107, v113, v115
	v_fmamk_f16 v115, v104, 0xb461, v117
	v_fma_f16 v117, v104, 0xb461, -v117
	v_add_f16_e32 v106, v106, v112
	v_mul_f16_e32 v112, 0xb836, v105
	v_add_f16_e64 v128, v132, v133
	v_add_f16_e32 v115, v115, v122
	v_add_f16_e32 v116, v117, v116
	v_mul_f16_e32 v122, 0x3bf7, v105
	v_fmamk_f16 v117, v104, 0xbacd, v112
	v_fma_f16 v112, v104, 0xbacd, -v112
	v_add_f16_e64 v121, v121, v128
	v_mul_f16_e32 v113, 0xb5c8, v105
	v_sub_f16_e32 v99, v99, v103
	v_add_f16_e32 v59, v117, v59
	v_add_f16_e32 v112, v112, v114
	v_fmamk_f16 v114, v104, 0x2de8, v122
	v_fma_f16 v117, v104, 0x2de8, -v122
	v_mul_f16_e32 v122, 0xb1e1, v105
	v_fmamk_f16 v125, v104, 0x3b76, v113
	v_fma_f16 v113, v104, 0x3b76, -v113
	v_add_f16_e32 v114, v114, v121
	v_mul_f16_e32 v103, 0x3b29, v105
	v_fmamk_f16 v121, v104, 0xbbdd, v122
	v_add_f16_e32 v98, v98, v101
	v_add_f16_e32 v110, v113, v110
	v_mul_f16_e32 v113, 0xb964, v105
	v_mul_f16_e32 v101, 0xb836, v99
	v_add_f16_e32 v105, v121, v109
	v_fma_f16 v109, v104, 0xbbdd, -v122
	v_add_f16_e32 v119, v125, v119
	v_fmamk_f16 v125, v104, 0x39e9, v113
	v_fma_f16 v113, v104, 0x39e9, -v113
	v_fmamk_f16 v121, v104, 0x3722, v103
	v_fma_f16 v103, v104, 0x3722, -v103
	v_add_f16_e32 v104, v109, v108
	v_mul_f16_e32 v108, 0x3b29, v99
	v_fmamk_f16 v109, v98, 0xbacd, v101
	v_fma_f16 v101, v98, 0xbacd, -v101
	v_add_f16_e32 v68, v103, v68
	v_add_f16_e32 v111, v126, v111
	v_fmamk_f16 v103, v98, 0x3722, v108
	v_add_f16_e32 v107, v109, v107
	v_mul_f16_e32 v109, 0xbbf7, v99
	v_fma_f16 v108, v98, 0x3722, -v108
	v_add_f16_e32 v106, v101, v106
	v_add_f16_e32 v103, v103, v115
	v_mul_f16_e32 v101, 0x3a62, v99
	v_fmamk_f16 v115, v98, 0x2de8, v109
	v_add_f16_e32 v108, v108, v116
	v_mul_f16_e32 v116, 0xb5c8, v99
	v_fma_f16 v109, v98, 0x2de8, -v109
	v_add_f16_e32 v120, v120, v127
	v_add_f16_e32 v111, v121, v111
	v_fmamk_f16 v121, v98, 0xb8d2, v101
	v_add_f16_e32 v115, v115, v119
	v_fmamk_f16 v119, v98, 0x3b76, v116
	v_add_f16_e32 v109, v109, v110
	v_mul_f16_e32 v110, 0xb1e1, v99
	v_add_f16_e32 v117, v117, v123
	v_add_f16_e32 v120, v125, v120
	;; [unrolled: 1-line block ×4, first 2 shown]
	v_fma_f16 v116, v98, 0x3b76, -v116
	v_fmamk_f16 v119, v98, 0xbbdd, v110
	v_add_f16_e32 v121, v51, v89
	v_fma_f16 v101, v98, 0xb8d2, -v101
	v_sub_f16_e32 v91, v91, v94
	v_add_f16_e32 v116, v116, v117
	v_add_f16_e32 v117, v119, v120
	;; [unrolled: 1-line block ×4, first 2 shown]
	v_mul_f16_e32 v101, 0x3964, v99
	v_mul_f16_e32 v94, 0xbbb2, v99
	v_add_f16_e32 v113, v113, v124
	v_add_f16_e32 v99, v119, v80
	v_fma_f16 v110, v98, 0xbbdd, -v110
	v_fmamk_f16 v122, v98, 0x39e9, v101
	v_add_f16_e32 v90, v90, v92
	v_mul_f16_e32 v92, 0xb1e1, v91
	v_add_f16_e32 v99, v99, v76
	v_add_f16_e32 v110, v110, v113
	;; [unrolled: 1-line block ×3, first 2 shown]
	v_fmamk_f16 v105, v98, 0xb461, v94
	v_fma_f16 v94, v98, 0xb461, -v94
	v_add_f16_e32 v99, v99, v72
	v_fma_f16 v101, v98, 0x39e9, -v101
	v_fmamk_f16 v98, v90, 0xbbdd, v92
	v_fma_f16 v92, v90, 0xbbdd, -v92
	v_add_f16_e32 v68, v94, v68
	v_mul_f16_e32 v94, 0x35c8, v91
	v_add_f16_e32 v99, v99, v67
	v_add_f16_e32 v119, v101, v104
	;; [unrolled: 1-line block ×4, first 2 shown]
	v_fmamk_f16 v104, v90, 0x3b76, v94
	v_fma_f16 v94, v90, 0x3b76, -v94
	v_add_f16_e32 v92, v99, v63
	v_mul_f16_e32 v107, 0xb836, v91
	v_add_f16_e32 v120, v105, v111
	v_add_f16_e32 v104, v104, v103
	;; [unrolled: 1-line block ×3, first 2 shown]
	v_mul_f16_e32 v94, 0x3964, v91
	v_add_f16_e32 v92, v92, v61
	v_fmamk_f16 v105, v90, 0xbacd, v107
	v_fma_f16 v103, v90, 0xbacd, -v107
	v_mul_f16_e32 v108, 0xba62, v91
	v_fmamk_f16 v106, v90, 0x39e9, v94
	v_add_f16_e32 v92, v92, v62
	v_fma_f16 v94, v90, 0x39e9, -v94
	v_add_f16_e32 v103, v103, v109
	v_fmamk_f16 v109, v90, 0xb8d2, v108
	v_add_f16_e32 v107, v106, v59
	v_add_f16_e32 v59, v92, v64
	;; [unrolled: 1-line block ×3, first 2 shown]
	v_fma_f16 v94, v90, 0xb8d2, -v108
	v_add_f16_e32 v109, v109, v114
	v_mul_f16_e32 v114, 0xbbb2, v91
	v_add_f16_e32 v59, v59, v69
	v_mul_f16_e32 v92, 0x3b29, v91
	v_add_f16_e32 v108, v94, v116
	v_mul_f16_e32 v91, 0x3bf7, v91
	v_fmamk_f16 v94, v90, 0xb461, v114
	v_add_f16_e32 v59, v59, v73
	v_fmamk_f16 v111, v90, 0x3722, v92
	v_fma_f16 v92, v90, 0x3722, -v92
	v_add_f16_e32 v89, v89, v93
	v_add_f16_e32 v112, v94, v113
	;; [unrolled: 1-line block ×3, first 2 shown]
	v_sub_f16_e32 v94, v95, v100
	v_add_f16_e32 v110, v92, v110
	v_fma_f16 v92, v90, 0xb461, -v114
	v_fmamk_f16 v95, v90, 0x2de8, v91
	v_add_f16_e32 v59, v59, v82
	v_fma_f16 v90, v90, 0x2de8, -v91
	v_mul_f16_e32 v91, 0xb5c8, v94
	v_mul_f16_e32 v122, 0xb836, v94
	v_add_f16_e32 v105, v105, v115
	v_add_f16_e32 v59, v59, v86
	;; [unrolled: 1-line block ×6, first 2 shown]
	v_fmamk_f16 v68, v89, 0x3b76, v91
	v_mul_f16_e32 v90, 0xb964, v94
	v_add_f16_e32 v113, v59, v93
	v_fma_f16 v59, v89, 0x3b76, -v91
	v_mul_f16_e32 v91, 0xbb29, v94
	v_mul_f16_e32 v95, 0xbbf7, v94
	;; [unrolled: 1-line block ×4, first 2 shown]
	v_fmamk_f16 v123, v89, 0xbacd, v122
	v_mul_f16_e32 v94, 0xb1e1, v94
	v_sub_f16_e32 v87, v87, v96
	v_fmamk_f16 v92, v89, 0x39e9, v90
	v_fma_f16 v90, v89, 0x39e9, -v90
	v_fmamk_f16 v93, v89, 0x3722, v91
	v_fma_f16 v91, v89, 0x3722, -v91
	;; [unrolled: 2-line block ×5, first 2 shown]
	v_fma_f16 v96, v89, 0xbacd, -v122
	v_add_f16_e32 v122, v51, v123
	v_fmamk_f16 v123, v89, 0xbbdd, v94
	v_add_f16_e32 v85, v85, v86
	v_mul_f16_e32 v86, 0xb964, v87
	v_fma_f16 v89, v89, 0xbbdd, -v94
	v_add_f16_e32 v68, v51, v68
	v_add_f16_e32 v59, v51, v59
	;; [unrolled: 1-line block ×14, first 2 shown]
	v_mul_f16_e32 v123, 0xbbf7, v87
	v_fmamk_f16 v124, v85, 0x39e9, v86
	v_fma_f16 v86, v85, 0x39e9, -v86
	v_add_f16_e32 v51, v51, v89
	v_mul_f16_e32 v89, 0xba62, v87
	v_fmamk_f16 v125, v85, 0x2de8, v123
	v_add_f16_e32 v68, v124, v68
	v_add_f16_e32 v59, v86, v59
	v_fma_f16 v86, v85, 0x2de8, -v123
	v_fmamk_f16 v123, v85, 0xb8d2, v89
	v_mul_f16_e32 v124, 0xb1e1, v87
	v_fma_f16 v89, v85, 0xb8d2, -v89
	v_add_f16_e32 v92, v125, v92
	v_add_f16_e32 v86, v86, v90
	;; [unrolled: 1-line block ×3, first 2 shown]
	v_mul_f16_e32 v93, 0x3836, v87
	v_fmamk_f16 v123, v85, 0xbbdd, v124
	v_add_f16_e32 v89, v89, v91
	v_fma_f16 v91, v85, 0xbbdd, -v124
	v_mul_f16_e32 v124, 0x3bb2, v87
	v_fmamk_f16 v125, v85, 0xbacd, v93
	v_fma_f16 v93, v85, 0xbacd, -v93
	v_sub_f16_e32 v84, v84, v88
	v_add_f16_e32 v91, v91, v95
	v_fmamk_f16 v95, v85, 0xb461, v124
	v_add_f16_e32 v116, v123, v116
	v_add_f16_e32 v93, v93, v117
	v_mul_f16_e32 v117, 0x3b29, v87
	v_mul_f16_e32 v87, 0x35c8, v87
	v_fma_f16 v123, v85, 0xb461, -v124
	v_add_f16_e32 v95, v95, v121
	v_add_f16_e32 v80, v80, v82
	v_fmamk_f16 v88, v85, 0x3722, v117
	v_fma_f16 v117, v85, 0x3722, -v117
	v_fmamk_f16 v121, v85, 0x3b76, v87
	v_mul_f16_e32 v82, 0xbb29, v84
	v_fma_f16 v85, v85, 0x3b76, -v87
	v_add_f16_e32 v88, v88, v122
	v_add_f16_e32 v87, v117, v96
	v_mul_f16_e32 v117, 0xba62, v84
	v_fmamk_f16 v96, v80, 0x3722, v82
	v_add_f16_e32 v51, v85, v51
	v_fma_f16 v82, v80, 0x3722, -v82
	v_mul_f16_e32 v85, 0x31e1, v84
	v_add_f16_e32 v94, v121, v94
	v_add_f16_e32 v68, v96, v68
	v_fmamk_f16 v96, v80, 0xb8d2, v117
	v_add_f16_e32 v59, v82, v59
	v_fmamk_f16 v82, v80, 0xbbdd, v85
	v_mul_f16_e32 v121, 0x3bb2, v84
	v_fma_f16 v117, v80, 0xb8d2, -v117
	v_add_f16_e32 v92, v96, v92
	v_mul_f16_e32 v96, 0x3964, v84
	v_add_f16_e32 v82, v82, v90
	v_fmamk_f16 v90, v80, 0xb461, v121
	v_add_f16_e32 v86, v117, v86
	v_fma_f16 v85, v80, 0xbbdd, -v85
	v_fma_f16 v117, v80, 0xb461, -v121
	v_mul_f16_e32 v121, 0xbbf7, v84
	v_add_f16_e32 v90, v90, v116
	v_fmamk_f16 v116, v80, 0x39e9, v96
	v_fma_f16 v96, v80, 0x39e9, -v96
	v_add_f16_e32 v85, v85, v89
	v_mul_f16_e32 v89, 0xb5c8, v84
	v_mul_f16_e32 v84, 0xb836, v84
	v_sub_f16_e32 v81, v81, v83
	v_add_f16_e32 v93, v96, v93
	v_fmamk_f16 v96, v80, 0x2de8, v121
	v_fma_f16 v83, v80, 0x2de8, -v121
	v_add_f16_e32 v76, v76, v78
	v_mul_f16_e32 v78, 0xbbf7, v81
	v_add_f16_e32 v91, v117, v91
	v_add_f16_e32 v88, v96, v88
	v_fmamk_f16 v96, v80, 0xbacd, v84
	v_fmamk_f16 v117, v80, 0x3b76, v89
	v_fma_f16 v89, v80, 0x3b76, -v89
	v_add_f16_e32 v83, v83, v87
	v_fma_f16 v80, v80, 0xbacd, -v84
	v_add_f16_e32 v84, v96, v94
	v_mul_f16_e32 v87, 0xb1e1, v81
	v_fmamk_f16 v94, v76, 0x2de8, v78
	v_fma_f16 v78, v76, 0x2de8, -v78
	v_add_f16_e32 v51, v80, v51
	v_mul_f16_e32 v80, 0x3bb2, v81
	v_fmamk_f16 v96, v76, 0xbbdd, v87
	v_add_f16_e32 v68, v94, v68
	v_add_f16_e32 v59, v78, v59
	v_fma_f16 v78, v76, 0xbbdd, -v87
	v_fmamk_f16 v87, v76, 0xb461, v80
	v_mul_f16_e32 v94, 0x35c8, v81
	v_fma_f16 v80, v76, 0xb461, -v80
	v_add_f16_e32 v119, v123, v119
	v_add_f16_e32 v78, v78, v86
	v_mul_f16_e32 v86, 0xbb29, v81
	v_add_f16_e32 v92, v96, v92
	v_add_f16_e32 v82, v87, v82
	v_fmamk_f16 v87, v76, 0x3b76, v94
	v_add_f16_e32 v80, v80, v85
	v_fma_f16 v85, v76, 0x3b76, -v94
	v_mul_f16_e32 v94, 0xb836, v81
	v_fmamk_f16 v96, v76, 0x3722, v86
	v_fma_f16 v86, v76, 0x3722, -v86
	v_add_f16_e32 v89, v89, v119
	v_add_f16_e32 v87, v87, v90
	v_fmamk_f16 v90, v76, 0xbacd, v94
	v_fma_f16 v94, v76, 0xbacd, -v94
	v_add_f16_e32 v86, v86, v93
	v_mul_f16_e32 v93, 0x3a62, v81
	v_mul_f16_e32 v81, 0x3964, v81
	v_sub_f16_e32 v77, v77, v79
	v_add_f16_e32 v89, v94, v89
	v_add_f16_e32 v72, v72, v73
	v_fmamk_f16 v79, v76, 0xb8d2, v93
	v_fma_f16 v93, v76, 0xb8d2, -v93
	v_fmamk_f16 v94, v76, 0x39e9, v81
	v_mul_f16_e32 v73, 0xbbb2, v77
	v_fma_f16 v76, v76, 0x39e9, -v81
	v_add_f16_e32 v79, v79, v88
	v_add_f16_e32 v81, v93, v83
	;; [unrolled: 1-line block ×3, first 2 shown]
	v_fmamk_f16 v84, v72, 0xb461, v73
	v_mul_f16_e32 v88, 0x3836, v77
	v_add_f16_e32 v51, v76, v51
	v_fma_f16 v73, v72, 0xb461, -v73
	v_mul_f16_e32 v76, 0x3964, v77
	v_add_f16_e32 v68, v84, v68
	v_fmamk_f16 v84, v72, 0xbacd, v88
	v_mul_f16_e32 v93, 0xbb29, v77
	v_add_f16_e32 v59, v73, v59
	v_fmamk_f16 v73, v72, 0x39e9, v76
	v_fma_f16 v76, v72, 0x39e9, -v76
	v_add_f16_e32 v85, v85, v91
	v_fma_f16 v88, v72, 0xbacd, -v88
	v_add_f16_e32 v84, v84, v92
	;; [unrolled: 2-line block ×3, first 2 shown]
	v_mul_f16_e32 v80, 0x3bf7, v77
	v_add_f16_e32 v95, v117, v95
	v_add_f16_e32 v78, v88, v78
	v_add_f16_e32 v73, v73, v82
	v_fmamk_f16 v82, v72, 0x3722, v93
	v_mul_f16_e32 v88, 0xb1e1, v77
	v_add_f16_e32 v85, v92, v85
	v_fmamk_f16 v92, v72, 0x2de8, v80
	v_mul_f16_e32 v93, 0xb5c8, v77
	v_fma_f16 v80, v72, 0x2de8, -v80
	v_mul_f16_e32 v77, 0xba62, v77
	v_sub_f16_e32 v74, v74, v75
	v_add_f16_e32 v90, v90, v95
	v_add_f16_e32 v82, v82, v87
	v_fmamk_f16 v87, v72, 0xbbdd, v88
	v_fma_f16 v88, v72, 0xbbdd, -v88
	v_add_f16_e32 v80, v80, v89
	v_fma_f16 v75, v72, 0x3b76, -v93
	v_fmamk_f16 v89, v72, 0xb8d2, v77
	v_add_f16_e32 v67, v67, v69
	v_mul_f16_e32 v69, 0xba62, v74
	v_add_f16_e32 v86, v88, v86
	v_add_f16_e32 v88, v92, v90
	v_fmamk_f16 v90, v72, 0x3b76, v93
	v_add_f16_e32 v75, v75, v81
	v_fma_f16 v72, v72, 0xb8d2, -v77
	v_add_f16_e32 v77, v89, v83
	v_mul_f16_e32 v81, 0x3bb2, v74
	v_fmamk_f16 v83, v67, 0xb8d2, v69
	v_fma_f16 v69, v67, 0xb8d2, -v69
	v_add_f16_e32 v51, v72, v51
	v_mul_f16_e32 v72, 0xb5c8, v74
	v_fmamk_f16 v89, v67, 0xb461, v81
	v_add_f16_e32 v68, v83, v68
	v_add_f16_e32 v59, v69, v59
	v_fma_f16 v69, v67, 0xb461, -v81
	v_fmamk_f16 v81, v67, 0x3b76, v72
	v_add_f16_e32 v83, v89, v84
	v_mul_f16_e32 v84, 0xb836, v74
	v_fma_f16 v72, v67, 0x3b76, -v72
	v_add_f16_e32 v69, v69, v78
	v_mul_f16_e32 v78, 0x3bf7, v74
	v_add_f16_e32 v73, v81, v73
	v_fmamk_f16 v81, v67, 0xbacd, v84
	v_add_f16_e32 v72, v72, v76
	v_fma_f16 v76, v67, 0xbacd, -v84
	v_mul_f16_e32 v84, 0xb964, v74
	v_fmamk_f16 v89, v67, 0x2de8, v78
	v_fma_f16 v78, v67, 0x2de8, -v78
	v_add_f16_e32 v81, v81, v82
	v_sub_f16_e32 v70, v70, v71
	v_fmamk_f16 v82, v67, 0x39e9, v84
	v_fma_f16 v84, v67, 0x39e9, -v84
	v_add_f16_e32 v78, v78, v86
	v_mul_f16_e32 v86, 0xb1e1, v74
	v_mul_f16_e32 v74, 0x3b29, v74
	v_add_f16_e32 v79, v90, v79
	v_add_f16_e32 v80, v84, v80
	v_add_f16_e32 v63, v63, v64
	v_fmamk_f16 v71, v67, 0xbbdd, v86
	v_fma_f16 v84, v67, 0xbbdd, -v86
	v_fmamk_f16 v86, v67, 0x3722, v74
	v_mul_f16_e32 v64, 0xb836, v70
	v_fma_f16 v67, v67, 0x3722, -v74
	v_add_f16_e32 v71, v71, v79
	v_add_f16_e32 v74, v84, v75
	;; [unrolled: 1-line block ×3, first 2 shown]
	v_fmamk_f16 v77, v63, 0xbacd, v64
	v_mul_f16_e32 v79, 0x3b29, v70
	v_add_f16_e32 v51, v67, v51
	v_fma_f16 v64, v63, 0xbacd, -v64
	v_mul_f16_e32 v67, 0xbbf7, v70
	v_add_f16_e32 v68, v77, v68
	v_fmamk_f16 v77, v63, 0x3722, v79
	v_mul_f16_e32 v84, 0x3a62, v70
	v_add_f16_e32 v59, v64, v59
	v_fmamk_f16 v64, v63, 0x2de8, v67
	v_fma_f16 v67, v63, 0x2de8, -v67
	v_add_f16_e32 v76, v76, v85
	v_fma_f16 v79, v63, 0x3722, -v79
	v_add_f16_e32 v77, v77, v83
	;; [unrolled: 2-line block ×3, first 2 shown]
	v_mul_f16_e32 v72, 0xb1e1, v70
	v_add_f16_e32 v69, v79, v69
	v_add_f16_e32 v64, v64, v73
	v_fmamk_f16 v73, v63, 0xb8d2, v84
	v_mul_f16_e32 v79, 0xb5c8, v70
	v_add_f16_e32 v76, v83, v76
	v_fmamk_f16 v83, v63, 0xbbdd, v72
	v_mul_f16_e32 v84, 0x3964, v70
	v_fma_f16 v72, v63, 0xbbdd, -v72
	v_mul_f16_e32 v70, 0xbbb2, v70
	v_sub_f16_e32 v65, v65, v66
	v_add_f16_e32 v82, v82, v88
	v_add_f16_e32 v73, v73, v81
	v_fmamk_f16 v81, v63, 0x3b76, v79
	v_fma_f16 v79, v63, 0x3b76, -v79
	v_add_f16_e32 v72, v72, v80
	v_fma_f16 v66, v63, 0x39e9, -v84
	v_fmamk_f16 v80, v63, 0xb461, v70
	v_add_f16_e32 v61, v61, v62
	v_mul_f16_e32 v62, 0xb1e1, v65
	v_add_f16_e32 v78, v79, v78
	v_add_f16_e32 v79, v83, v82
	v_fmamk_f16 v82, v63, 0x39e9, v84
	v_add_f16_e32 v66, v66, v74
	v_fma_f16 v63, v63, 0xb461, -v70
	v_add_f16_e32 v70, v80, v75
	v_mul_f16_e32 v74, 0x35c8, v65
	v_fmamk_f16 v75, v61, 0xbbdd, v62
	v_fma_f16 v62, v61, 0xbbdd, -v62
	v_add_f16_e32 v120, v125, v120
	v_add_f16_e32 v51, v63, v51
	v_mul_f16_e32 v63, 0xb836, v65
	v_fmamk_f16 v80, v61, 0x3b76, v74
	v_add_f16_e32 v117, v62, v59
	v_fma_f16 v59, v61, 0x3b76, -v74
	v_add_f16_e32 v116, v116, v120
	v_fmamk_f16 v62, v61, 0xbacd, v63
	v_fma_f16 v63, v61, 0xbacd, -v63
	v_add_f16_e32 v71, v82, v71
	v_add_f16_e32 v120, v59, v69
	v_mul_f16_e32 v59, 0xba62, v65
	v_add_f16_e32 v91, v96, v116
	v_add_f16_e32 v116, v75, v68
	v_mul_f16_e32 v68, 0x3964, v65
	v_add_f16_e32 v122, v63, v67
	v_fmamk_f16 v67, v61, 0xb8d2, v59
	v_fma_f16 v59, v61, 0xb8d2, -v59
	v_add_f16_e32 v121, v62, v64
	v_fma_f16 v63, v61, 0x39e9, -v68
	v_fmamk_f16 v62, v61, 0x39e9, v68
	v_mul_f16_e32 v64, 0x3b29, v65
	v_add_f16_e32 v126, v59, v78
	v_mul_f16_e32 v59, 0x3bf7, v65
	v_add_f16_e32 v87, v87, v91
	v_add_f16_e32 v124, v63, v76
	v_mul_f16_e32 v63, 0xbbb2, v65
	v_add_f16_e32 v123, v62, v73
	v_fmamk_f16 v65, v61, 0x2de8, v59
	v_fma_f16 v59, v61, 0x2de8, -v59
	v_fmamk_f16 v62, v61, 0x3722, v64
	v_add_f16_e32 v85, v89, v87
	v_add_f16_e32 v119, v80, v77
	v_add_f16_e64 v131, v65, v70
	v_add_f16_e64 v132, v59, v51
	v_lshlrev_b32_e32 v51, 1, v41
	v_lshlrev_b32_e32 v59, 1, v42
	v_add_f16_e32 v127, v62, v79
	v_fma_f16 v62, v61, 0x3722, -v64
	v_fmamk_f16 v64, v61, 0xb461, v63
	v_fma_f16 v63, v61, 0xb461, -v63
	v_lshlrev_b32_e32 v61, 1, v43
	v_add_f16_e32 v81, v81, v85
	v_add3_u32 v94, 0, v51, v22
	v_add3_u32 v95, 0, v59, v22
	v_add_f16_e64 v128, v62, v72
	v_add3_u32 v96, 0, v61, v22
	v_add_f16_e32 v125, v67, v81
	v_add_f16_e64 v129, v64, v71
	v_add_f16_e64 v130, v63, v66
	global_wb scope:SCOPE_SE
	s_wait_dscnt 0x0
	s_barrier_signal -1
	s_barrier_wait -1
	global_inv scope:SCOPE_SE
	ds_load_u16 v68, v94
	ds_load_u16 v74, v95
	;; [unrolled: 1-line block ×3, first 2 shown]
	ds_load_u16 v65, v40 offset:272
	ds_load_u16 v70, v40 offset:306
	;; [unrolled: 1-line block ×4, first 2 shown]
	ds_load_u16 v51, v44
	ds_load_u16 v80, v40 offset:170
	ds_load_u16 v59, v40 offset:238
	;; [unrolled: 1-line block ×25, first 2 shown]
	ds_load_u16 v64, v45
	ds_load_u16 v92, v40 offset:1156
	global_wb scope:SCOPE_SE
	s_wait_dscnt 0x0
	s_barrier_signal -1
	s_barrier_wait -1
	global_inv scope:SCOPE_SE
	ds_store_b16 v102, v118
	ds_store_b16 v102, v101 offset:14
	ds_store_b16 v102, v104 offset:28
	;; [unrolled: 1-line block ×16, first 2 shown]
	ds_store_b16 v97, v113
	ds_store_b16 v97, v116 offset:14
	ds_store_b16 v97, v119 offset:28
	;; [unrolled: 1-line block ×16, first 2 shown]
	s_and_saveexec_b32 s1, s0
	s_cbranch_execz .LBB0_20
; %bb.19:
	v_add_f16_e32 v97, v23, v58
	v_sub_f16_e32 v16, v16, v17
	v_sub_f16_e32 v18, v60, v18
	v_add_f16_e32 v58, v58, v56
	v_add_f16_e32 v60, v57, v55
	v_add_f16_e32 v17, v97, v57
	v_mul_f16_e32 v103, 0xb964, v16
	v_mul_f16_e32 v57, 0xb5c8, v18
	;; [unrolled: 1-line block ×4, first 2 shown]
	v_add_f16_e32 v17, v17, v53
	v_mul_f16_e32 v99, 0xbbf7, v18
	v_mul_f16_e32 v100, 0xbbb2, v18
	;; [unrolled: 1-line block ×4, first 2 shown]
	v_add_f16_e32 v17, v17, v50
	v_mul_f16_e32 v18, 0xb1e1, v18
	v_mul_f16_e32 v104, 0xbbf7, v16
	v_fmamk_f16 v107, v58, 0x3b76, v57
	v_fma_f16 v57, v58, 0x3b76, -v57
	v_add_f16_e32 v17, v17, v48
	v_fmamk_f16 v108, v58, 0x39e9, v97
	v_fma_f16 v97, v58, 0x39e9, -v97
	v_mul_f16_e32 v106, 0xb1e1, v16
	v_fmamk_f16 v109, v58, 0x3722, v98
	v_add_f16_e32 v17, v17, v46
	v_fma_f16 v98, v58, 0x3722, -v98
	v_fmamk_f16 v110, v58, 0x2de8, v99
	v_fma_f16 v99, v58, 0x2de8, -v99
	v_fmamk_f16 v111, v58, 0xb461, v100
	v_add_f16_e32 v17, v17, v14
	v_fma_f16 v100, v58, 0xb461, -v100
	v_fmamk_f16 v112, v58, 0xb8d2, v101
	v_fma_f16 v101, v58, 0xb8d2, -v101
	;; [unrolled: 5-line block ×4, first 2 shown]
	v_add_f16_e32 v107, v23, v107
	v_add_f16_e32 v17, v17, v15
	;; [unrolled: 1-line block ×23, first 2 shown]
	v_mul_f16_e32 v104, 0x3bb2, v16
	v_mul_f16_e32 v105, 0xba62, v16
	v_mul_f16_e32 v107, 0x3b29, v16
	v_add_f16_e32 v17, v17, v55
	v_add_f16_e32 v55, v103, v57
	v_fma_f16 v103, v60, 0xbbdd, -v106
	v_sub_f16_e32 v10, v10, v11
	v_fmamk_f16 v117, v60, 0xbbdd, v106
	v_add_f16_e32 v17, v17, v56
	v_mul_f16_e32 v56, 0x3836, v16
	v_add_f16_e32 v99, v103, v99
	v_fmamk_f16 v103, v60, 0xb461, v104
	v_fma_f16 v104, v60, 0xb461, -v104
	v_mul_f16_e32 v16, 0x35c8, v16
	v_fmamk_f16 v106, v60, 0xbacd, v56
	v_fma_f16 v56, v60, 0xbacd, -v56
	v_fma_f16 v11, v60, 0x3722, -v107
	v_add_f16_e32 v101, v104, v101
	v_fmamk_f16 v104, v60, 0x3b76, v16
	v_add_f16_e32 v53, v53, v54
	v_mul_f16_e32 v54, 0xbb29, v10
	v_fma_f16 v16, v60, 0x3b76, -v16
	v_fmamk_f16 v116, v60, 0xb8d2, v105
	v_fma_f16 v105, v60, 0xb8d2, -v105
	v_add_f16_e32 v56, v56, v100
	v_add_f16_e32 v100, v103, v112
	v_fmamk_f16 v103, v60, 0x3722, v107
	v_add_f16_e32 v11, v11, v102
	v_add_f16_e32 v60, v104, v114
	v_mul_f16_e32 v102, 0xba62, v10
	v_fmamk_f16 v104, v53, 0x3722, v54
	v_fma_f16 v54, v53, 0x3722, -v54
	v_add_f16_e32 v16, v16, v18
	v_mul_f16_e32 v18, 0x31e1, v10
	v_add_f16_e32 v97, v116, v109
	v_fmamk_f16 v107, v53, 0xb8d2, v102
	v_add_f16_e32 v54, v54, v55
	v_fma_f16 v55, v53, 0xb8d2, -v102
	v_fmamk_f16 v102, v53, 0xbbdd, v18
	v_add_f16_e32 v57, v115, v108
	v_add_f16_e32 v98, v105, v98
	;; [unrolled: 1-line block ×3, first 2 shown]
	v_mul_f16_e32 v104, 0x3bb2, v10
	v_fma_f16 v18, v53, 0xbbdd, -v18
	v_add_f16_e32 v55, v55, v58
	v_add_f16_e32 v58, v102, v97
	v_mul_f16_e32 v97, 0x3964, v10
	v_add_f16_e32 v57, v107, v57
	v_fmamk_f16 v102, v53, 0xb461, v104
	v_add_f16_e32 v18, v18, v98
	v_fma_f16 v98, v53, 0xb461, -v104
	v_mul_f16_e32 v104, 0xb5c8, v10
	v_fmamk_f16 v107, v53, 0x39e9, v97
	v_fma_f16 v97, v53, 0x39e9, -v97
	v_sub_f16_e32 v8, v8, v9
	v_add_f16_e32 v98, v98, v99
	v_fmamk_f16 v99, v53, 0x3b76, v104
	v_fma_f16 v104, v53, 0x3b76, -v104
	v_add_f16_e32 v56, v97, v56
	v_mul_f16_e32 v97, 0xbbf7, v10
	v_mul_f16_e32 v10, 0xb836, v10
	v_add_f16_e32 v99, v99, v100
	v_add_f16_e32 v100, v104, v101
	;; [unrolled: 1-line block ×3, first 2 shown]
	v_fmamk_f16 v9, v53, 0x2de8, v97
	v_fma_f16 v97, v53, 0x2de8, -v97
	v_fmamk_f16 v101, v53, 0xbacd, v10
	v_mul_f16_e32 v52, 0xbbf7, v8
	v_fma_f16 v10, v53, 0xbacd, -v10
	v_add_f16_e32 v105, v117, v110
	v_add_f16_e32 v11, v97, v11
	;; [unrolled: 1-line block ×3, first 2 shown]
	v_fmamk_f16 v60, v50, 0x2de8, v52
	v_mul_f16_e32 v97, 0xb1e1, v8
	v_add_f16_e32 v10, v10, v16
	v_fma_f16 v16, v50, 0x2de8, -v52
	v_mul_f16_e32 v52, 0x3bb2, v8
	v_add_f16_e32 v23, v60, v23
	v_fmamk_f16 v60, v50, 0xbbdd, v97
	v_fma_f16 v97, v50, 0xbbdd, -v97
	v_add_f16_e32 v16, v16, v54
	v_fmamk_f16 v54, v50, 0xb461, v52
	v_mul_f16_e32 v101, 0x35c8, v8
	v_fma_f16 v52, v50, 0xb461, -v52
	v_add_f16_e32 v102, v102, v105
	v_add_f16_e32 v57, v60, v57
	;; [unrolled: 1-line block ×4, first 2 shown]
	v_fmamk_f16 v58, v50, 0x3b76, v101
	v_mul_f16_e32 v60, 0xbb29, v8
	v_fma_f16 v97, v50, 0x3b76, -v101
	v_add_f16_e32 v18, v52, v18
	v_mul_f16_e32 v52, 0xb836, v8
	v_add_f16_e32 v103, v103, v113
	v_add_f16_e32 v58, v58, v102
	v_fmamk_f16 v101, v50, 0x3722, v60
	v_add_f16_e32 v97, v97, v98
	v_fma_f16 v60, v50, 0x3722, -v60
	v_fmamk_f16 v98, v50, 0xbacd, v52
	v_mul_f16_e32 v102, 0x3a62, v8
	v_add_f16_e32 v9, v9, v103
	v_mul_f16_e32 v8, 0x3964, v8
	v_add_f16_e32 v56, v60, v56
	v_add_f16_e32 v60, v98, v99
	v_fmamk_f16 v98, v50, 0xb8d2, v102
	v_sub_f16_e32 v6, v6, v7
	v_fma_f16 v7, v50, 0xb8d2, -v102
	v_add_f16_e32 v48, v48, v49
	v_fma_f16 v52, v50, 0xbacd, -v52
	v_add_f16_e32 v9, v98, v9
	v_fmamk_f16 v98, v50, 0x39e9, v8
	v_mul_f16_e32 v49, 0xbbb2, v6
	v_fma_f16 v8, v50, 0x39e9, -v8
	v_add_f16_e32 v7, v7, v11
	v_mul_f16_e32 v50, 0x3836, v6
	v_add_f16_e32 v11, v98, v53
	v_fmamk_f16 v53, v48, 0xb461, v49
	v_fma_f16 v49, v48, 0xb461, -v49
	v_add_f16_e32 v8, v8, v10
	v_mul_f16_e32 v10, 0x3964, v6
	v_fmamk_f16 v98, v48, 0xbacd, v50
	v_add_f16_e32 v23, v53, v23
	v_add_f16_e32 v16, v49, v16
	v_fma_f16 v49, v48, 0xbacd, -v50
	v_fmamk_f16 v50, v48, 0x39e9, v10
	v_add_f16_e32 v53, v98, v57
	v_mul_f16_e32 v57, 0xbb29, v6
	v_fma_f16 v10, v48, 0x39e9, -v10
	v_add_f16_e32 v49, v49, v55
	v_add_f16_e32 v50, v50, v54
	v_mul_f16_e32 v54, 0xb1e1, v6
	v_fmamk_f16 v55, v48, 0x3722, v57
	v_add_f16_e32 v10, v10, v18
	v_fma_f16 v18, v48, 0x3722, -v57
	v_mul_f16_e32 v57, 0x3bf7, v6
	v_fmamk_f16 v98, v48, 0xbbdd, v54
	v_fma_f16 v54, v48, 0xbbdd, -v54
	v_add_f16_e32 v52, v52, v100
	v_add_f16_e32 v55, v55, v58
	v_fmamk_f16 v58, v48, 0x2de8, v57
	v_fma_f16 v57, v48, 0x2de8, -v57
	v_add_f16_e32 v54, v54, v56
	v_mul_f16_e32 v56, 0xb5c8, v6
	v_mul_f16_e32 v6, 0xba62, v6
	v_sub_f16_e32 v4, v4, v5
	v_add_f16_e32 v52, v57, v52
	v_add_f16_e32 v46, v46, v47
	v_fmamk_f16 v5, v48, 0x3b76, v56
	v_fmamk_f16 v57, v48, 0xb8d2, v6
	v_mul_f16_e32 v47, 0xba62, v4
	v_fma_f16 v6, v48, 0xb8d2, -v6
	v_fma_f16 v56, v48, 0x3b76, -v56
	v_add_f16_e32 v5, v5, v9
	v_add_f16_e32 v9, v57, v11
	v_fmamk_f16 v11, v46, 0xb8d2, v47
	v_mul_f16_e32 v48, 0x3bb2, v4
	v_fma_f16 v47, v46, 0xb8d2, -v47
	v_add_f16_e32 v6, v6, v8
	v_mul_f16_e32 v8, 0xb5c8, v4
	v_add_f16_e32 v7, v56, v7
	v_add_f16_e32 v11, v11, v23
	v_fmamk_f16 v23, v46, 0xb461, v48
	v_add_f16_e32 v16, v47, v16
	v_fma_f16 v47, v46, 0xb461, -v48
	v_fmamk_f16 v48, v46, 0x3b76, v8
	v_mul_f16_e32 v56, 0xb836, v4
	v_fma_f16 v8, v46, 0x3b76, -v8
	v_add_f16_e32 v18, v18, v97
	v_add_f16_e32 v47, v47, v49
	;; [unrolled: 1-line block ×3, first 2 shown]
	v_fmamk_f16 v49, v46, 0xbacd, v56
	v_mul_f16_e32 v50, 0x3bf7, v4
	v_add_f16_e32 v23, v23, v53
	v_add_f16_e32 v8, v8, v10
	v_fma_f16 v10, v46, 0xbacd, -v56
	v_mul_f16_e32 v53, 0xb964, v4
	v_add_f16_e32 v49, v49, v55
	v_fmamk_f16 v55, v46, 0x2de8, v50
	v_fma_f16 v50, v46, 0x2de8, -v50
	v_add_f16_e32 v10, v10, v18
	v_fmamk_f16 v18, v46, 0x39e9, v53
	v_fma_f16 v53, v46, 0x39e9, -v53
	v_sub_f16_e32 v2, v2, v3
	v_add_f16_e32 v50, v50, v54
	v_mul_f16_e32 v54, 0xb1e1, v4
	v_mul_f16_e32 v3, 0x3b29, v4
	v_add_f16_e32 v52, v53, v52
	v_add_f16_e32 v14, v14, v15
	v_mul_f16_e32 v15, 0xb836, v2
	v_fmamk_f16 v4, v46, 0xbbdd, v54
	v_fma_f16 v53, v46, 0xbbdd, -v54
	v_fmamk_f16 v54, v46, 0x3722, v3
	v_fma_f16 v3, v46, 0x3722, -v3
	v_mul_f16_e32 v46, 0x3b29, v2
	v_add_f16_e32 v4, v4, v5
	v_add_f16_e32 v5, v53, v7
	v_fmamk_f16 v7, v14, 0xbacd, v15
	v_add_f16_e32 v3, v3, v6
	v_fma_f16 v6, v14, 0xbacd, -v15
	v_fmamk_f16 v15, v14, 0x3722, v46
	v_fma_f16 v46, v14, 0x3722, -v46
	v_add_f16_e32 v7, v7, v11
	v_mul_f16_e32 v11, 0xbbf7, v2
	v_add_f16_e32 v6, v6, v16
	v_mul_f16_e32 v16, 0x3a62, v2
	v_add_f16_e32 v15, v15, v23
	v_add_f16_e32 v23, v46, v47
	v_fmamk_f16 v53, v14, 0x2de8, v11
	v_fma_f16 v11, v14, 0x2de8, -v11
	v_fmamk_f16 v46, v14, 0xb8d2, v16
	v_fma_f16 v16, v14, 0xb8d2, -v16
	v_sub_f16_e32 v0, v0, v1
	v_add_f16_e32 v47, v53, v48
	v_mul_f16_e32 v48, 0xb5c8, v2
	v_add_f16_e32 v8, v11, v8
	v_add_f16_e32 v11, v46, v49
	;; [unrolled: 1-line block ×3, first 2 shown]
	v_mul_f16_e32 v46, 0xb1e1, v2
	v_fmamk_f16 v49, v14, 0x3b76, v48
	v_fma_f16 v16, v14, 0x3b76, -v48
	v_mul_f16_e32 v48, 0x3964, v2
	v_mul_f16_e32 v2, 0xbbb2, v2
	v_add_f16_e32 v106, v106, v111
	v_add_f16_e32 v9, v54, v9
	v_add_f16_e32 v16, v16, v50
	v_fmamk_f16 v50, v14, 0x39e9, v48
	v_add_f16_e32 v12, v12, v13
	v_mul_f16_e32 v13, 0xb1e1, v0
	v_add_f16_e32 v105, v107, v106
	v_fmamk_f16 v53, v14, 0xbbdd, v46
	v_add_f16_e32 v1, v50, v4
	v_fma_f16 v4, v14, 0x39e9, -v48
	v_fmamk_f16 v48, v14, 0xb461, v2
	v_fma_f16 v2, v14, 0xb461, -v2
	v_fma_f16 v46, v14, 0xbbdd, -v46
	v_fmamk_f16 v14, v12, 0xbbdd, v13
	v_add_f16_e32 v4, v4, v5
	v_mul_f16_e32 v5, 0x35c8, v0
	v_add_f16_e32 v9, v48, v9
	v_add_f16_e32 v2, v2, v3
	v_fma_f16 v3, v12, 0xbbdd, -v13
	v_mul_f16_e32 v48, 0xb836, v0
	v_fmamk_f16 v13, v12, 0x3b76, v5
	v_add_f16_e32 v101, v101, v105
	v_add_f16_e32 v58, v58, v60
	;; [unrolled: 1-line block ×3, first 2 shown]
	v_fma_f16 v5, v12, 0x3b76, -v5
	v_add_f16_e32 v3, v3, v6
	v_add_f16_e32 v6, v13, v15
	v_fmamk_f16 v13, v12, 0xbacd, v48
	v_mul_f16_e32 v14, 0x3964, v0
	v_add_f16_e32 v97, v98, v101
	v_add_f16_e32 v18, v18, v58
	;; [unrolled: 1-line block ×3, first 2 shown]
	v_fma_f16 v15, v12, 0xbacd, -v48
	v_mul_f16_e32 v23, 0xba62, v0
	v_add_f16_e32 v13, v13, v47
	v_fmamk_f16 v47, v12, 0x39e9, v14
	v_fma_f16 v14, v12, 0x39e9, -v14
	v_mul_f16_e32 v48, 0x3b29, v0
	v_add_f16_e32 v55, v55, v97
	v_add_f16_e32 v18, v53, v18
	;; [unrolled: 1-line block ×4, first 2 shown]
	v_fmamk_f16 v15, v12, 0xb8d2, v23
	v_add_f16_e32 v11, v47, v11
	v_add_f16_e32 v10, v14, v10
	v_fma_f16 v14, v12, 0xb8d2, -v23
	v_fmamk_f16 v23, v12, 0x3722, v48
	v_fma_f16 v47, v12, 0x3722, -v48
	v_mul_f16_e32 v48, 0xbbb2, v0
	v_mul_f16_e32 v0, 0x3bf7, v0
	v_add_f16_e32 v49, v49, v55
	v_add_f16_e32 v14, v14, v16
	;; [unrolled: 1-line block ×4, first 2 shown]
	v_fmamk_f16 v23, v12, 0xb461, v48
	v_fma_f16 v46, v12, 0xb461, -v48
	v_fmamk_f16 v47, v12, 0x2de8, v0
	v_fma_f16 v0, v12, 0x2de8, -v0
	v_add3_u32 v12, 0, v19, v22
	v_add_f16_e32 v15, v15, v49
	v_add_f16_e32 v1, v23, v1
	;; [unrolled: 1-line block ×5, first 2 shown]
	ds_store_b16 v12, v17 offset:952
	ds_store_b16 v12, v7 offset:966
	;; [unrolled: 1-line block ×17, first 2 shown]
.LBB0_20:
	s_wait_alu 0xfffe
	s_or_b32 exec_lo, exec_lo, s1
	global_wb scope:SCOPE_SE
	s_wait_dscnt 0x0
	s_barrier_signal -1
	s_barrier_wait -1
	global_inv scope:SCOPE_SE
	s_and_saveexec_b32 s0, vcc_lo
	s_cbranch_execz .LBB0_22
; %bb.21:
	v_dual_mov_b32 v23, 0 :: v_dual_lshlrev_b32 v22, 2, v24
	s_delay_alu instid0(VALU_DEP_1) | instskip(SKIP_1) | instid1(VALU_DEP_2)
	v_lshlrev_b64_e32 v[0:1], 2, v[22:23]
	v_lshlrev_b32_e32 v22, 2, v25
	v_add_co_u32 v0, vcc_lo, s4, v0
	s_wait_alu 0xfffd
	s_delay_alu instid0(VALU_DEP_3) | instskip(SKIP_3) | instid1(VALU_DEP_1)
	v_add_co_ci_u32_e32 v1, vcc_lo, s5, v1, vcc_lo
	global_load_b128 v[4:7], v[0:1], off offset:448
	v_lshlrev_b64_e32 v[0:1], 2, v[22:23]
	v_lshlrev_b32_e32 v22, 2, v43
	v_lshlrev_b64_e32 v[8:9], 2, v[22:23]
	s_delay_alu instid0(VALU_DEP_3) | instskip(SKIP_1) | instid1(VALU_DEP_4)
	v_add_co_u32 v0, vcc_lo, s4, v0
	s_wait_alu 0xfffd
	v_add_co_ci_u32_e32 v1, vcc_lo, s5, v1, vcc_lo
	v_lshlrev_b32_e32 v22, 2, v42
	s_delay_alu instid0(VALU_DEP_4)
	v_add_co_u32 v8, vcc_lo, s4, v8
	global_load_b128 v[0:3], v[0:1], off offset:448
	s_wait_alu 0xfffd
	v_add_co_ci_u32_e32 v9, vcc_lo, s5, v9, vcc_lo
	v_lshlrev_b64_e32 v[12:13], 2, v[22:23]
	v_lshlrev_b32_e32 v22, 2, v41
	global_load_b128 v[8:11], v[8:9], off offset:448
	v_add_co_u32 v12, vcc_lo, s4, v12
	s_wait_alu 0xfffd
	v_add_co_ci_u32_e32 v13, vcc_lo, s5, v13, vcc_lo
	global_load_b128 v[16:19], v[12:13], off offset:448
	v_lshlrev_b64_e32 v[12:13], 2, v[22:23]
	v_lshlrev_b32_e32 v22, 2, v39
	s_delay_alu instid0(VALU_DEP_2) | instskip(SKIP_1) | instid1(VALU_DEP_3)
	v_add_co_u32 v12, vcc_lo, s4, v12
	s_wait_alu 0xfffd
	v_add_co_ci_u32_e32 v13, vcc_lo, s5, v13, vcc_lo
	s_delay_alu instid0(VALU_DEP_3)
	v_lshlrev_b64_e32 v[41:42], 2, v[22:23]
	v_lshlrev_b32_e32 v22, 2, v36
	global_load_b128 v[12:15], v[12:13], off offset:448
	ds_load_u16 v43, v40 offset:680
	ds_load_u16 v46, v40 offset:204
	;; [unrolled: 1-line block ×10, first 2 shown]
	ds_load_u16 v53, v96
	ds_load_u16 v54, v95
	;; [unrolled: 1-line block ×3, first 2 shown]
	ds_load_u16 v39, v40 offset:1156
	ds_load_u16 v108, v45
	v_add_co_u32 v41, vcc_lo, s4, v41
	s_wait_alu 0xfffd
	v_add_co_ci_u32_e32 v42, vcc_lo, s5, v42, vcc_lo
	ds_load_u16 v45, v40 offset:374
	ds_load_u16 v55, v40 offset:340
	;; [unrolled: 1-line block ×13, first 2 shown]
	ds_load_u16 v94, v44
	v_lshlrev_b64_e32 v[22:23], 2, v[22:23]
	global_load_b128 v[100:103], v[41:42], off offset:448
	ds_load_u16 v118, v40 offset:1122
	v_add_co_u32 v22, vcc_lo, s4, v22
	s_wait_alu 0xfffd
	v_add_co_ci_u32_e32 v23, vcc_lo, s5, v23, vcc_lo
	global_load_b128 v[104:107], v[22:23], off offset:448
	s_wait_loadcnt 0x6
	v_lshrrev_b32_e32 v41, 16, v4
	v_lshrrev_b32_e32 v42, 16, v5
	;; [unrolled: 1-line block ×4, first 2 shown]
	s_delay_alu instid0(VALU_DEP_4) | instskip(NEXT) | instid1(VALU_DEP_4)
	v_mul_f16_e32 v22, v90, v41
	v_mul_f16_e32 v23, v93, v42
	s_delay_alu instid0(VALU_DEP_4) | instskip(NEXT) | instid1(VALU_DEP_4)
	v_mul_f16_e32 v116, v92, v44
	v_mul_f16_e32 v117, v91, v115
	s_wait_dscnt 0x1d
	v_mul_f16_e32 v42, v43, v42
	s_wait_dscnt 0x9
	v_mul_f16_e32 v115, v56, v115
	v_mul_f16_e32 v41, v50, v41
	;; [unrolled: 1-line block ×3, first 2 shown]
	v_fmac_f16_e32 v22, v50, v4
	v_fmac_f16_e32 v23, v43, v5
	s_wait_loadcnt 0x5
	v_lshrrev_b32_e32 v119, 16, v0
	v_lshrrev_b32_e32 v120, 16, v1
	;; [unrolled: 1-line block ×4, first 2 shown]
	v_fmac_f16_e32 v116, v39, v7
	v_fmac_f16_e32 v117, v56, v6
	v_fma_f16 v5, v93, v5, -v42
	v_fma_f16 v39, v91, v6, -v115
	;; [unrolled: 1-line block ×3, first 2 shown]
	ds_load_u16 v90, v40 offset:1088
	v_fma_f16 v42, v92, v7, -v44
	v_mul_f16_e32 v43, v87, v120
	v_mul_f16_e32 v44, v89, v121
	;; [unrolled: 1-line block ×4, first 2 shown]
	s_wait_dscnt 0x1
	v_mul_f16_e32 v91, v118, v122
	s_wait_loadcnt 0x4
	v_lshrrev_b32_e32 v92, 16, v8
	v_mul_f16_e32 v41, v57, v121
	v_fmac_f16_e32 v43, v47, v1
	v_fmac_f16_e32 v44, v57, v2
	v_fma_f16 v47, v87, v1, -v7
	v_fma_f16 v7, v86, v0, -v56
	v_fma_f16 v56, v88, v3, -v91
	v_mul_f16_e32 v57, v81, v92
	v_mul_f16_e32 v91, v45, v92
	ds_load_u16 v92, v40 offset:1054
	v_mul_f16_e32 v6, v86, v119
	v_mul_f16_e32 v50, v88, v122
	v_lshrrev_b32_e32 v93, 16, v9
	v_lshrrev_b32_e32 v115, 16, v10
	;; [unrolled: 1-line block ×3, first 2 shown]
	v_add_f16_e32 v124, v23, v117
	v_add_f16_e32 v127, v5, v39
	v_sub_f16_e64 v130, v23, v22
	v_sub_f16_e64 v131, v117, v116
	v_add_f16_e64 v132, v22, v116
	v_add_f16_e64 v135, v4, v42
	v_fmac_f16_e32 v6, v52, v0
	v_fmac_f16_e32 v50, v118, v3
	v_fma_f16 v52, v89, v2, -v41
	v_mul_f16_e32 v86, v82, v93
	v_mul_f16_e32 v88, v84, v115
	v_sub_f16_e32 v120, v22, v23
	v_sub_f16_e32 v121, v116, v117
	;; [unrolled: 1-line block ×5, first 2 shown]
	v_sub_f16_e64 v128, v22, v116
	v_sub_f16_e64 v133, v5, v4
	;; [unrolled: 1-line block ×3, first 2 shown]
	v_add_f16_e32 v22, v22, v46
	v_add_f16_e32 v4, v85, v4
	v_mul_f16_e32 v87, v83, v119
	v_mul_f16_e32 v41, v48, v93
	v_mul_f16_e32 v89, v58, v115
	s_wait_dscnt 0x1
	v_mul_f16_e32 v93, v90, v119
	s_wait_loadcnt 0x3
	v_lshrrev_b32_e32 v115, 16, v16
	v_lshrrev_b32_e32 v118, 16, v17
	;; [unrolled: 1-line block ×4, first 2 shown]
	v_fma_f16 v2, -0.5, v124, v46
	v_fma_f16 v3, -0.5, v127, v85
	v_add_f16_e64 v124, v130, v131
	v_fma_f16 v0, -0.5, v132, v46
	v_fma_f16 v1, -0.5, v135, v85
	v_sub_f16_e32 v46, v6, v43
	v_sub_f16_e32 v85, v50, v44
	v_sub_f16_e64 v131, v7, v47
	v_sub_f16_e64 v132, v56, v52
	v_add_f16_e64 v143, v6, v114
	v_add_f16_e64 v144, v80, v7
	v_fmac_f16_e32 v86, v48, v9
	v_fmac_f16_e32 v88, v58, v10
	v_sub_f16_e64 v129, v23, v117
	v_add_f16_e32 v120, v120, v121
	v_add_f16_e32 v121, v125, v126
	v_add_f16_e64 v125, v133, v134
	v_add_f16_e32 v22, v23, v22
	v_add_f16_e32 v23, v4, v5
	v_add_f16_e64 v130, v43, v44
	v_add_f16_e64 v133, v47, v52
	v_sub_f16_e64 v135, v43, v44
	v_sub_f16_e64 v137, v43, v6
	;; [unrolled: 1-line block ×3, first 2 shown]
	v_add_f16_e64 v139, v6, v50
	v_sub_f16_e64 v140, v47, v7
	v_sub_f16_e64 v141, v52, v56
	v_add_f16_e64 v142, v7, v56
	v_fmac_f16_e32 v57, v45, v8
	v_fmac_f16_e32 v87, v90, v11
	v_fma_f16 v45, v82, v9, -v41
	v_fma_f16 v58, v84, v10, -v89
	ds_load_u16 v89, v40 offset:1020
	v_fma_f16 v8, v81, v8, -v91
	v_fma_f16 v81, v83, v11, -v93
	v_mul_f16_e32 v48, v76, v115
	v_mul_f16_e32 v82, v77, v118
	v_mul_f16_e64 v83, v78, v136
	v_mul_f16_e32 v84, v79, v119
	v_mul_f16_e32 v9, v49, v118
	;; [unrolled: 1-line block ×4, first 2 shown]
	s_wait_dscnt 0x1
	v_mul_f16_e64 v90, v92, v136
	v_add_f16_e32 v85, v46, v85
	v_add_f16_e64 v118, v131, v132
	v_add_f16_e64 v43, v43, v143
	;; [unrolled: 1-line block ×4, first 2 shown]
	v_sub_f16_e32 v122, v5, v39
	v_sub_f16_e32 v126, v47, v52
	v_fmamk_f16 v4, v123, 0x3b9c, v2
	v_add_f16_e32 v115, v117, v22
	v_add_f16_e32 v117, v23, v39
	v_fmac_f16_e32 v2, 0xbb9c, v123
	v_fma_f16 v39, -0.5, v130, v114
	v_fma_f16 v41, -0.5, v133, v80
	v_add_f16_e64 v119, v137, v138
	v_fma_f16 v22, -0.5, v139, v114
	v_add_f16_e64 v114, v140, v141
	v_fma_f16 v23, -0.5, v142, v80
	v_sub_f16_e32 v47, v57, v86
	v_sub_f16_e32 v80, v87, v88
	v_sub_f16_e64 v131, v8, v81
	v_sub_f16_e64 v133, v8, v45
	;; [unrolled: 1-line block ×3, first 2 shown]
	v_add_f16_e64 v137, v45, v58
	v_sub_f16_e64 v138, v57, v87
	v_sub_f16_e64 v140, v86, v57
	v_sub_f16_e64 v141, v88, v87
	v_add_f16_e64 v142, v57, v87
	v_add_f16_e64 v145, v8, v81
	v_add_f16_e32 v57, v57, v53
	v_add_f16_e64 v146, v75, v8
	v_fmac_f16_e32 v48, v55, v16
	v_fmac_f16_e32 v82, v49, v17
	;; [unrolled: 1-line block ×4, first 2 shown]
	v_fma_f16 v77, v77, v17, -v9
	v_fma_f16 v79, v79, v18, -v10
	;; [unrolled: 1-line block ×4, first 2 shown]
	v_add_f16_e32 v19, v44, v43
	v_add_f16_e32 v43, v46, v52
	v_fma_f16 v46, -0.5, v132, v53
	v_sub_f16_e32 v127, v7, v56
	v_sub_f16_e64 v134, v6, v50
	v_fma_f16 v5, 0xbb9c, v128, v3
	v_fmamk_f16 v6, v122, 0x3b9c, v0
	v_fma_f16 v7, 0xbb9c, v129, v1
	v_fmac_f16_e32 v0, 0xbb9c, v122
	v_fmac_f16_e64 v1, 0x3b9c, v129
	v_fmac_f16_e64 v3, 0x3b9c, v128
	v_sub_f16_e64 v130, v45, v58
	v_sub_f16_e64 v143, v45, v8
	v_fmac_f16_e32 v4, 0x38b4, v122
	v_add_f16_e32 v8, v116, v115
	v_add_f16_e32 v9, v42, v117
	v_fmac_f16_e32 v2, 0xb8b4, v122
	v_add_f16_e32 v80, v47, v80
	v_add_f16_e64 v90, v133, v136
	v_fma_f16 v47, -0.5, v137, v75
	v_add_f16_e64 v92, v140, v141
	v_fma_f16 v42, -0.5, v142, v53
	v_fma_f16 v44, -0.5, v145, v75
	v_add_f16_e32 v52, v86, v57
	v_add_f16_e64 v53, v146, v45
	v_sub_f16_e32 v116, v18, v76
	v_add_f16_e32 v60, v82, v84
	v_sub_f16_e32 v75, v18, v77
	v_sub_f16_e32 v117, v76, v79
	v_add_f16_e32 v122, v77, v79
	v_sub_f16_e64 v136, v77, v18
	v_add_f16_e64 v140, v18, v76
	v_add_f16_e64 v141, v48, v54
	;; [unrolled: 1-line block ×3, first 2 shown]
	v_add_f16_e32 v18, v50, v19
	v_add_f16_e32 v19, v56, v43
	v_fma_f16 v43, 0x3b9c, v131, v46
	v_fmac_f16_e64 v46, 0xbb9c, v131
	s_wait_loadcnt 0x2
	v_lshrrev_b32_e32 v93, 16, v13
	v_fmac_f16_e64 v5, 0xb8b4, v129
	v_fmac_f16_e64 v7, 0x38b4, v128
	;; [unrolled: 1-line block ×4, first 2 shown]
	v_fmamk_f16 v10, v127, 0x3b9c, v39
	v_fmac_f16_e32 v39, 0xbb9c, v127
	v_sub_f16_e32 v55, v48, v82
	v_sub_f16_e32 v57, v83, v84
	v_sub_f16_e64 v128, v82, v84
	v_sub_f16_e64 v129, v82, v48
	v_add_f16_e64 v133, v48, v83
	v_add_f16_e32 v50, v88, v52
	v_add_f16_e32 v52, v53, v58
	v_fma_f16 v60, -0.5, v60, v54
	v_add_f16_e32 v117, v75, v117
	v_fma_f16 v75, -0.5, v122, v74
	v_fma_f16 v56, -0.5, v140, v74
	v_add_f16_e64 v74, v82, v141
	v_fmac_f16_e64 v43, 0x38b4, v130
	v_fmac_f16_e64 v46, 0xb8b4, v130
	v_lshrrev_b32_e32 v82, 16, v14
	v_lshrrev_b32_e32 v91, 16, v12
	v_sub_f16_e64 v139, v86, v88
	v_sub_f16_e64 v144, v58, v81
	v_sub_f16_e32 v86, v77, v79
	v_sub_f16_e64 v132, v84, v83
	v_fmac_f16_e32 v10, 0x38b4, v126
	v_fmac_f16_e32 v39, 0xb8b4, v126
	v_add_f16_e32 v88, v55, v57
	v_fma_f16 v55, -0.5, v133, v54
	v_add_f16_e32 v52, v81, v52
	v_fmamk_f16 v53, v116, 0x3b9c, v60
	v_fmac_f16_e32 v60, 0xbb9c, v116
	v_add_f16_e32 v74, v84, v74
	v_fmac_f16_e32 v43, 0x34f2, v80
	v_fmac_f16_e32 v46, 0x34f2, v80
	v_mul_f16_e32 v80, v71, v93
	v_lshrrev_b32_e32 v81, 16, v15
	v_mul_f16_e32 v84, v73, v82
	v_mul_f16_e32 v78, v70, v91
	v_fmac_f16_e32 v6, 0xb8b4, v123
	v_fmac_f16_e32 v0, 0x38b4, v123
	v_sub_f16_e32 v123, v48, v83
	v_fmac_f16_e32 v10, 0x34f2, v85
	v_fmac_f16_e32 v39, 0x34f2, v85
	v_add_f16_e32 v50, v87, v50
	ds_load_u16 v87, v40 offset:986
	v_fmamk_f16 v57, v86, 0xbb9c, v55
	v_fmac_f16_e32 v55, 0x3b9c, v86
	v_fmac_f16_e32 v53, 0x38b4, v86
	;; [unrolled: 1-line block ×3, first 2 shown]
	v_add_f16_e32 v74, v83, v74
	v_fmac_f16_e32 v80, v97, v13
	v_mul_f16_e32 v83, v72, v81
	v_mul_f16_e32 v85, v97, v93
	;; [unrolled: 1-line block ×4, first 2 shown]
	s_wait_dscnt 0x1
	v_mul_f16_e32 v81, v89, v81
	v_fmac_f16_e32 v84, v111, v14
	v_fma_f16 v45, 0xbb9c, v138, v47
	v_fmac_f16_e64 v47, 0x3b9c, v138
	v_fmac_f16_e32 v78, v109, v12
	v_fma_f16 v13, v71, v13, -v85
	v_fma_f16 v82, v73, v14, -v82
	;; [unrolled: 1-line block ×4, first 2 shown]
	v_add_f16_e32 v14, v80, v84
	v_fmac_f16_e64 v45, 0xb8b4, v139
	v_fmac_f16_e64 v47, 0x38b4, v139
	v_add_f16_e64 v77, v142, v77
	v_fmac_f16_e32 v83, v89, v15
	v_add_f16_e32 v15, v13, v82
	v_sub_f16_e32 v85, v12, v81
	v_fma_f16 v72, -0.5, v14, v96
	v_fmac_f16_e32 v45, 0x34f2, v90
	v_fmac_f16_e32 v47, 0x34f2, v90
	;; [unrolled: 1-line block ×4, first 2 shown]
	v_sub_f16_e32 v71, v78, v80
	v_sub_f16_e32 v14, v83, v84
	v_fma_f16 v73, -0.5, v15, v68
	v_sub_f16_e32 v88, v13, v82
	v_fmamk_f16 v15, v85, 0x3b9c, v72
	v_sub_f16_e32 v89, v12, v13
	v_sub_f16_e32 v90, v81, v82
	v_add_f16_e32 v77, v77, v79
	v_fmac_f16_e32 v72, 0xbb9c, v85
	v_sub_f16_e64 v137, v79, v76
	v_add_f16_e32 v79, v71, v14
	v_fmac_f16_e32 v15, 0x38b4, v88
	v_add_f16_e32 v89, v89, v90
	v_add_f16_e32 v71, v78, v83
	;; [unrolled: 1-line block ×3, first 2 shown]
	v_fmac_f16_e32 v72, 0xb8b4, v88
	v_sub_f16_e32 v77, v80, v78
	v_sub_f16_e32 v90, v84, v83
	;; [unrolled: 1-line block ×3, first 2 shown]
	v_fmac_f16_e32 v15, 0x34f2, v79
	v_fma_f16 v76, -0.5, v71, v96
	v_fmac_f16_e32 v72, 0x34f2, v79
	v_add_f16_e32 v78, v78, v96
	v_add_f16_e32 v79, v77, v90
	;; [unrolled: 1-line block ×3, first 2 shown]
	v_sub_f16_e32 v91, v80, v84
	v_fmamk_f16 v71, v88, 0xbb9c, v76
	v_fmac_f16_e32 v76, 0x3b9c, v88
	v_add_f16_e32 v80, v80, v78
	v_fma_f16 v78, -0.5, v77, v68
	v_fmamk_f16 v70, v86, 0xbb9c, v73
	v_fmac_f16_e32 v71, 0x38b4, v85
	v_fmac_f16_e32 v76, 0xb8b4, v85
	v_add_f16_e32 v80, v84, v80
	v_sub_f16_e32 v84, v13, v12
	v_sub_f16_e32 v85, v82, v81
	v_fmamk_f16 v77, v91, 0x3b9c, v78
	v_fmac_f16_e32 v78, 0xbb9c, v91
	v_add_f16_e32 v12, v68, v12
	v_fmac_f16_e32 v71, 0x34f2, v79
	v_fmac_f16_e32 v76, 0x34f2, v79
	v_add_f16_e32 v83, v83, v80
	v_add_f16_e32 v79, v84, v85
	v_fmac_f16_e32 v77, 0xb8b4, v86
	v_fmac_f16_e32 v78, 0x38b4, v86
	s_wait_loadcnt 0x1
	v_lshrrev_b32_e32 v80, 16, v101
	v_add_f16_e32 v12, v12, v13
	v_lshrrev_b32_e32 v84, 16, v102
	v_lshrrev_b32_e32 v68, 16, v100
	v_fmac_f16_e32 v77, 0x34f2, v79
	v_fmac_f16_e32 v78, 0x34f2, v79
	v_mul_f16_e32 v79, v66, v80
	v_lshrrev_b32_e32 v85, 16, v103
	v_add_f16_e32 v12, v12, v82
	v_mul_f16_e32 v82, v69, v84
	v_fmac_f16_e32 v73, 0x3b9c, v86
	v_mul_f16_e32 v13, v65, v68
	v_fmac_f16_e32 v79, v98, v101
	v_mul_f16_e32 v86, v67, v85
	v_mul_f16_e32 v68, v110, v68
	s_wait_dscnt 0x0
	v_mul_f16_e32 v85, v87, v85
	v_fmac_f16_e32 v82, v112, v102
	v_mul_f16_e32 v80, v98, v80
	v_mul_f16_e32 v84, v112, v84
	v_fmac_f16_e32 v13, v110, v100
	v_fma_f16 v65, v65, v100, -v68
	v_fma_f16 v67, v67, v103, -v85
	v_add_f16_e32 v68, v79, v82
	v_fmac_f16_e32 v86, v87, v103
	v_fma_f16 v66, v66, v101, -v80
	v_fma_f16 v69, v69, v102, -v84
	v_fmac_f16_e32 v70, 0xb8b4, v91
	v_fmac_f16_e32 v73, 0x38b4, v91
	v_sub_f16_e32 v80, v65, v67
	v_fma_f16 v84, -0.5, v68, v108
	v_sub_f16_e32 v68, v13, v79
	v_sub_f16_e32 v85, v86, v82
	v_add_f16_e32 v87, v66, v69
	v_fmac_f16_e32 v70, 0x34f2, v89
	v_fmac_f16_e32 v73, 0x34f2, v89
	ds_load_u16 v40, v40 offset:952
	v_sub_f16_e32 v88, v66, v69
	v_fmamk_f16 v89, v80, 0x3b9c, v84
	v_add_f16_e32 v81, v81, v12
	v_add_f16_e32 v12, v68, v85
	v_fma_f16 v85, -0.5, v87, v64
	v_sub_f16_e32 v68, v13, v86
	v_sub_f16_e32 v87, v65, v66
	v_sub_f16_e32 v90, v67, v69
	v_add_f16_e32 v91, v13, v86
	v_sub_f16_e32 v96, v79, v13
	v_add_f16_e32 v97, v65, v67
	v_fmac_f16_e32 v84, 0xbb9c, v80
	v_add_f16_e32 v13, v13, v108
	v_fma_f16 v48, 0xbb9c, v130, v42
	v_fmac_f16_e64 v42, 0x3b9c, v130
	v_fmac_f16_e32 v89, 0x38b4, v88
	v_sub_f16_e32 v93, v79, v82
	v_fma_f16 v91, -0.5, v91, v108
	v_sub_f16_e32 v98, v82, v86
	v_add_f16_e32 v87, v87, v90
	v_fma_f16 v90, -0.5, v97, v64
	v_fmac_f16_e32 v84, 0xb8b4, v88
	v_add_f16_e32 v13, v79, v13
	v_fmac_f16_e64 v48, 0x38b4, v131
	v_fmac_f16_e64 v42, 0xb8b4, v131
	v_fmamk_f16 v97, v88, 0xbb9c, v91
	v_add_f16_e32 v96, v96, v98
	v_sub_f16_e32 v98, v66, v65
	v_fmamk_f16 v101, v93, 0x3b9c, v90
	v_fmac_f16_e32 v89, 0x34f2, v12
	v_fmac_f16_e32 v91, 0x3b9c, v88
	;; [unrolled: 1-line block ×4, first 2 shown]
	v_add_f16_e32 v12, v82, v13
	v_add_f16_e32 v13, v64, v65
	s_wait_loadcnt 0x0
	v_lshrrev_b32_e32 v65, 16, v105
	v_lshrrev_b32_e32 v79, 16, v106
	v_fmac_f16_e32 v48, 0x34f2, v92
	v_fmac_f16_e32 v42, 0x34f2, v92
	v_fmamk_f16 v92, v68, 0xbb9c, v85
	v_fmac_f16_e32 v97, 0x38b4, v80
	v_fmac_f16_e32 v101, 0xb8b4, v68
	;; [unrolled: 1-line block ×5, first 2 shown]
	v_lshrrev_b32_e32 v64, 16, v104
	v_add_f16_e32 v82, v86, v12
	v_add_f16_e32 v12, v13, v66
	v_mul_f16_e32 v66, v62, v65
	v_lshrrev_b32_e32 v68, 16, v107
	v_mul_f16_e32 v80, v63, v79
	v_sub_f16_e32 v100, v69, v67
	v_mul_f16_e32 v13, v59, v64
	v_add_f16_e32 v12, v12, v69
	v_fmac_f16_e32 v66, v99, v105
	v_mul_f16_e32 v69, v61, v68
	s_wait_dscnt 0x0
	v_mul_f16_e32 v68, v40, v68
	v_fmac_f16_e32 v80, v113, v106
	v_mul_f16_e32 v65, v99, v65
	v_mul_f16_e32 v79, v113, v79
	v_mul_f16_e32 v64, v95, v64
	v_fmac_f16_e32 v13, v95, v104
	v_fma_f16 v68, v61, v107, -v68
	v_add_f16_e32 v61, v66, v80
	v_fmac_f16_e32 v69, v40, v107
	v_fma_f16 v65, v62, v105, -v65
	v_fma_f16 v79, v63, v106, -v79
	;; [unrolled: 1-line block ×3, first 2 shown]
	v_sub_f16_e32 v62, v13, v66
	v_fma_f16 v86, -0.5, v61, v94
	v_sub_f16_e32 v61, v69, v80
	v_fmac_f16_e32 v92, 0xb8b4, v93
	v_fmac_f16_e32 v85, 0x38b4, v93
	v_sub_f16_e32 v93, v59, v65
	v_sub_f16_e32 v95, v68, v79
	v_add_f16_e32 v99, v62, v61
	v_add_f16_e32 v61, v13, v69
	v_fmac_f16_e32 v92, 0x34f2, v87
	v_add_f16_e32 v98, v98, v100
	v_add_f16_e32 v93, v93, v95
	;; [unrolled: 1-line block ×4, first 2 shown]
	v_fmac_f16_e32 v85, 0x34f2, v87
	v_sub_f16_e32 v87, v65, v79
	v_fma_f16 v100, -0.5, v61, v94
	v_sub_f16_e32 v61, v66, v13
	v_fma_f16 v102, -0.5, v12, v51
	v_sub_f16_e32 v12, v80, v69
	v_sub_f16_e32 v62, v65, v59
	;; [unrolled: 1-line block ×4, first 2 shown]
	v_fmamk_f16 v103, v87, 0xbb9c, v100
	v_fmac_f16_e32 v100, 0x3b9c, v87
	v_add_f16_e32 v12, v61, v12
	v_add_f16_e32 v67, v62, v67
	v_mad_co_u64_u32 v[61:62], null, s8, v36, 0
	v_fmac_f16_e32 v101, 0x34f2, v98
	v_fmac_f16_e32 v90, 0x34f2, v98
	v_add_f16_e32 v40, v65, v79
	v_sub_f16_e32 v64, v13, v69
	v_sub_f16_e32 v98, v66, v80
	v_fmac_f16_e32 v103, 0x38b4, v63
	v_fmac_f16_e32 v100, 0xb8b4, v63
	v_add_f16_e32 v13, v13, v94
	v_fma_f16 v40, -0.5, v40, v51
	v_fmamk_f16 v104, v98, 0x3b9c, v102
	v_fmac_f16_e32 v102, 0xbb9c, v98
	v_fmac_f16_e32 v103, 0x34f2, v12
	;; [unrolled: 1-line block ×3, first 2 shown]
	v_add_f16_e32 v13, v66, v13
	v_mov_b32_e32 v12, v62
	v_add_f16_e32 v51, v51, v59
	v_fmac_f16_e32 v97, 0x34f2, v96
	v_fmac_f16_e32 v91, 0x34f2, v96
	v_fmamk_f16 v88, v63, 0x3b9c, v86
	v_fmamk_f16 v96, v64, 0xbb9c, v40
	v_fmac_f16_e32 v104, 0xb8b4, v64
	v_fmac_f16_e32 v102, 0x38b4, v64
	;; [unrolled: 1-line block ×4, first 2 shown]
	v_add_f16_e32 v59, v80, v13
	v_mad_co_u64_u32 v[12:13], null, s9, v36, v[12:13]
	v_mad_co_u64_u32 v[63:64], null, s8, v38, 0
	v_add_f16_e32 v51, v51, v65
	v_mad_co_u64_u32 v[65:66], null, s8, v37, 0
	v_fmac_f16_e32 v104, 0x34f2, v67
	v_mov_b32_e32 v62, v12
	s_delay_alu instid0(VALU_DEP_4)
	v_add_f16_e32 v13, v51, v79
	v_mov_b32_e32 v36, v64
	v_add_co_u32 v12, vcc_lo, s10, v20
	v_fmac_f16_e32 v102, 0x34f2, v67
	v_add_f16_e32 v51, v69, v59
	v_add_f16_e32 v59, v68, v13
	s_wait_alu 0xfffd
	v_add_co_ci_u32_e32 v13, vcc_lo, s11, v21, vcc_lo
	v_lshlrev_b64_e32 v[20:21], 2, v[61:62]
	v_mad_co_u64_u32 v[61:62], null, s9, v38, v[36:37]
	v_mov_b32_e32 v36, v66
	v_mad_co_u64_u32 v[67:68], null, s8, v35, 0
	v_pack_b32_f16 v38, v59, v51
	v_add_co_u32 v20, vcc_lo, v12, v20
	s_delay_alu instid0(VALU_DEP_4)
	v_mad_co_u64_u32 v[36:37], null, s9, v37, v[36:37]
	s_wait_alu 0xfffd
	v_add_co_ci_u32_e32 v21, vcc_lo, v13, v21, vcc_lo
	v_dual_mov_b32 v37, v68 :: v_dual_mov_b32 v64, v61
	v_fmac_f16_e32 v86, 0xb8b4, v87
	v_fmac_f16_e32 v40, 0x38b4, v98
	v_mov_b32_e32 v66, v36
	s_delay_alu instid0(VALU_DEP_4)
	v_mad_co_u64_u32 v[35:36], null, s9, v35, v[37:38]
	v_mad_co_u64_u32 v[36:37], null, s8, v34, 0
	global_store_b32 v[20:21], v38, off
	v_lshlrev_b64_e32 v[20:21], 2, v[63:64]
	v_mad_co_u64_u32 v[63:64], null, s8, v31, 0
	v_mov_b32_e32 v68, v35
	v_lshlrev_b64_e32 v[61:62], 2, v[65:66]
	v_mov_b32_e32 v35, v37
	v_fmac_f16_e32 v86, 0x34f2, v99
	v_fmac_f16_e32 v40, 0x34f2, v93
	v_add_co_u32 v20, vcc_lo, v12, v20
	s_delay_alu instid0(VALU_DEP_4)
	v_mad_co_u64_u32 v[34:35], null, s9, v34, v[35:36]
	v_mad_co_u64_u32 v[65:66], null, s8, v33, 0
	s_wait_alu 0xfffd
	v_add_co_ci_u32_e32 v21, vcc_lo, v13, v21, vcc_lo
	v_mov_b32_e32 v35, v64
	v_add_co_u32 v61, vcc_lo, v12, v61
	v_lshlrev_b64_e32 v[37:38], 2, v[67:68]
	v_pack_b32_f16 v40, v40, v86
	s_wait_alu 0xfffd
	v_add_co_ci_u32_e32 v62, vcc_lo, v13, v62, vcc_lo
	v_pack_b32_f16 v51, v102, v100
	v_mad_co_u64_u32 v[79:80], null, s9, v31, v[35:36]
	v_add_co_u32 v67, vcc_lo, v12, v37
	v_mov_b32_e32 v37, v34
	s_clause 0x1
	global_store_b32 v[20:21], v40, off
	global_store_b32 v[61:62], v51, off
	v_mov_b32_e32 v20, v66
	v_fmamk_f16 v16, v126, 0xbb9c, v22
	v_mov_b32_e32 v64, v79
	v_lshlrev_b64_e32 v[34:35], 2, v[36:37]
	v_mad_co_u64_u32 v[36:37], null, s8, v32, 0
	v_mad_co_u64_u32 v[20:21], null, s9, v33, v[20:21]
	v_fmac_f16_e32 v22, 0x3b9c, v126
	v_lshlrev_b64_e32 v[61:62], 2, v[63:64]
	v_mad_co_u64_u32 v[63:64], null, s8, v30, 0
	v_fmac_f16_e32 v88, 0x38b4, v87
	s_delay_alu instid0(VALU_DEP_4)
	v_fmac_f16_e32 v22, 0xb8b4, v127
	v_mov_b32_e32 v66, v20
	v_mov_b32_e32 v20, v37
	v_fmac_f16_e32 v96, 0xb8b4, v98
	v_mul_hi_u32 v51, 0x44d72045, v28
	s_wait_alu 0xfffd
	v_add_co_ci_u32_e32 v68, vcc_lo, v13, v38, vcc_lo
	v_add_co_u32 v33, vcc_lo, v12, v34
	v_lshlrev_b64_e32 v[37:38], 2, v[65:66]
	v_mad_co_u64_u32 v[20:21], null, s9, v32, v[20:21]
	v_fmac_f16_e32 v22, 0x34f2, v119
	v_fmac_f16_e32 v88, 0x34f2, v99
	;; [unrolled: 1-line block ×3, first 2 shown]
	v_pack_b32_f16 v31, v104, v103
	v_mov_b32_e32 v21, v64
	s_wait_alu 0xfffd
	v_add_co_ci_u32_e32 v34, vcc_lo, v13, v35, vcc_lo
	v_add_co_u32 v61, vcc_lo, v12, v61
	s_wait_alu 0xfffd
	v_add_co_ci_u32_e32 v62, vcc_lo, v13, v62, vcc_lo
	global_store_b32 v[67:68], v31, off
	v_pack_b32_f16 v35, v96, v88
	v_add_co_u32 v31, vcc_lo, v12, v37
	v_mad_co_u64_u32 v[64:65], null, s9, v30, v[21:22]
	v_lshrrev_b32_e32 v21, 5, v51
	v_pack_b32_f16 v40, v95, v82
	s_wait_alu 0xfffd
	v_add_co_ci_u32_e32 v32, vcc_lo, v13, v38, vcc_lo
	v_pack_b32_f16 v38, v85, v84
	v_mad_co_u64_u32 v[65:66], null, s8, v29, 0
	s_clause 0x2
	global_store_b32 v[33:34], v35, off
	global_store_b32 v[61:62], v40, off
	;; [unrolled: 1-line block ×3, first 2 shown]
	v_mad_u32_u24 v38, 0x1dc, v21, v28
	v_mov_b32_e32 v37, v20
	v_lshlrev_b64_e32 v[32:33], 2, v[63:64]
	v_pack_b32_f16 v34, v90, v91
	v_pack_b32_f16 v40, v92, v89
	v_mov_b32_e32 v28, v66
	v_mad_co_u64_u32 v[30:31], null, s8, v38, 0
	v_lshlrev_b64_e32 v[20:21], 2, v[36:37]
	v_add_nc_u32_e32 v36, 0xee, v38
	s_delay_alu instid0(VALU_DEP_4)
	v_mad_co_u64_u32 v[28:29], null, s9, v29, v[28:29]
	v_add_nc_u32_e32 v51, 0x165, v38
	v_fmac_f16_e32 v16, 0x38b4, v127
	v_mov_b32_e32 v29, v31
	v_add_co_u32 v20, vcc_lo, v12, v20
	s_wait_alu 0xfffd
	v_add_co_ci_u32_e32 v21, vcc_lo, v13, v21, vcc_lo
	v_mov_b32_e32 v66, v28
	v_mad_co_u64_u32 v[28:29], null, s9, v38, v[29:30]
	v_add_co_u32 v31, vcc_lo, v12, v32
	s_wait_alu 0xfffd
	v_add_co_ci_u32_e32 v32, vcc_lo, v13, v33, vcc_lo
	v_pack_b32_f16 v33, v101, v97
	global_store_b32 v[20:21], v34, off
	v_add_nc_u32_e32 v34, 0x77, v38
	v_lshlrev_b64_e32 v[20:21], 2, v[65:66]
	v_fmamk_f16 v54, v123, 0xbb9c, v75
	global_store_b32 v[31:32], v33, off
	v_mov_b32_e32 v31, v28
	v_mad_co_u64_u32 v[32:33], null, s8, v34, 0
	v_mad_co_u64_u32 v[28:29], null, s8, v36, 0
	s_delay_alu instid0(VALU_DEP_3) | instskip(SKIP_4) | instid1(VALU_DEP_4)
	v_lshlrev_b64_e32 v[30:31], 2, v[30:31]
	v_add_co_u32 v20, vcc_lo, v12, v20
	s_wait_alu 0xfffd
	v_add_co_ci_u32_e32 v21, vcc_lo, v13, v21, vcc_lo
	v_mad_co_u64_u32 v[33:34], null, s9, v34, v[33:34]
	v_add_co_u32 v30, vcc_lo, v12, v30
	v_mad_co_u64_u32 v[34:35], null, s8, v51, 0
	s_wait_alu 0xfffd
	v_add_co_ci_u32_e32 v31, vcc_lo, v13, v31, vcc_lo
	s_delay_alu instid0(VALU_DEP_3)
	v_mad_co_u64_u32 v[36:37], null, s9, v36, v[29:30]
	v_pack_b32_f16 v29, v81, v83
	v_mul_hi_u32 v37, 0x44d72045, v27
	global_store_b32 v[20:21], v40, off
	v_mov_b32_e32 v20, v35
	v_fmac_f16_e32 v75, 0x3b9c, v123
	global_store_b32 v[30:31], v29, off
	v_dual_mov_b32 v29, v36 :: v_dual_add_nc_u32 v36, 0x1dc, v38
	v_lshlrev_b64_e32 v[30:31], 2, v[32:33]
	v_mad_co_u64_u32 v[20:21], null, s9, v51, v[20:21]
	s_delay_alu instid0(VALU_DEP_3) | instskip(NEXT) | instid1(VALU_DEP_4)
	v_lshlrev_b64_e32 v[28:29], 2, v[28:29]
	v_mad_co_u64_u32 v[32:33], null, s8, v36, 0
	v_lshrrev_b32_e32 v21, 5, v37
	v_add_co_u32 v30, vcc_lo, v12, v30
	s_wait_alu 0xfffd
	v_add_co_ci_u32_e32 v31, vcc_lo, v13, v31, vcc_lo
	s_delay_alu instid0(VALU_DEP_3)
	v_mad_u32_u24 v40, 0x1dc, v21, v27
	v_add_co_u32 v27, vcc_lo, v12, v28
	v_mov_b32_e32 v35, v20
	s_wait_alu 0xfffd
	v_add_co_ci_u32_e32 v28, vcc_lo, v13, v29, vcc_lo
	v_mov_b32_e32 v29, v33
	v_add_nc_u32_e32 v59, 0x77, v40
	v_lshlrev_b64_e32 v[33:34], 2, v[34:35]
	v_pack_b32_f16 v38, v73, v72
	v_pack_b32_f16 v51, v78, v76
	v_mad_co_u64_u32 v[35:36], null, s9, v36, v[29:30]
	v_mad_co_u64_u32 v[36:37], null, s8, v59, 0
	v_add_co_u32 v61, vcc_lo, v12, v33
	s_clause 0x1
	global_store_b32 v[30:31], v38, off
	global_store_b32 v[27:28], v51, off
	s_wait_alu 0xfffd
	v_add_co_ci_u32_e32 v62, vcc_lo, v13, v34, vcc_lo
	v_mov_b32_e32 v33, v35
	v_mov_b32_e32 v27, v37
	v_add_nc_u32_e32 v35, 0xee, v40
	v_mad_co_u64_u32 v[20:21], null, s8, v40, 0
	s_delay_alu instid0(VALU_DEP_4)
	v_lshlrev_b64_e32 v[28:29], 2, v[32:33]
	v_add_nc_u32_e32 v38, 0x165, v40
	v_pack_b32_f16 v51, v70, v15
	v_fmac_f16_e32 v16, 0x34f2, v119
	v_fmac_f16_e64 v75, 0x38b4, v128
	v_fma_f16 v58, 0x3b9c, v128, v56
	v_mad_co_u64_u32 v[30:31], null, s9, v59, v[27:28]
	v_add_co_u32 v27, vcc_lo, v12, v28
	s_wait_alu 0xfffd
	v_add_co_ci_u32_e32 v28, vcc_lo, v13, v29, vcc_lo
	v_mad_co_u64_u32 v[63:64], null, s9, v40, v[21:22]
	s_delay_alu instid0(VALU_DEP_4)
	v_mov_b32_e32 v37, v30
	v_mad_co_u64_u32 v[29:30], null, s8, v35, 0
	v_pack_b32_f16 v59, v14, v74
	v_add_nc_u32_e32 v40, 0x1dc, v40
	v_mad_co_u64_u32 v[33:34], null, s8, v38, 0
	v_pack_b32_f16 v21, v77, v71
	v_lshlrev_b64_e32 v[31:32], 2, v[36:37]
	v_mov_b32_e32 v14, v30
	v_fmac_f16_e64 v56, 0xbb9c, v128
	v_fmac_f16_e32 v75, 0x34f2, v117
	global_store_b32 v[61:62], v21, off
	v_mov_b32_e32 v21, v63
	v_mad_co_u64_u32 v[14:15], null, s9, v35, v[14:15]
	v_mad_co_u64_u32 v[35:36], null, s8, v40, 0
	v_mov_b32_e32 v15, v34
	v_mul_hi_u32 v34, 0x44d72045, v26
	v_lshlrev_b64_e32 v[20:21], 2, v[20:21]
	global_store_b32 v[27:28], v51, off
	v_mov_b32_e32 v30, v14
	v_mad_co_u64_u32 v[37:38], null, s9, v38, v[15:16]
	v_mov_b32_e32 v14, v36
	v_add_co_u32 v20, vcc_lo, v12, v20
	v_lshrrev_b32_e32 v27, 5, v34
	s_wait_alu 0xfffd
	v_add_co_ci_u32_e32 v21, vcc_lo, v13, v21, vcc_lo
	v_mad_co_u64_u32 v[14:15], null, s9, v40, v[14:15]
	v_fmac_f16_e32 v4, 0x34f2, v120
	v_fmac_f16_e32 v5, 0x34f2, v121
	;; [unrolled: 1-line block ×4, first 2 shown]
	v_add_f16_e64 v120, v129, v132
	v_add_f16_e64 v121, v136, v137
	v_fmac_f16_e32 v55, 0xb8b4, v116
	v_fmac_f16_e32 v56, 0x38b4, v123
	v_add_co_u32 v31, vcc_lo, v12, v31
	v_mov_b32_e32 v34, v37
	v_mad_u32_u24 v37, 0x1dc, v27, v26
	s_wait_alu 0xfffd
	v_add_co_ci_u32_e32 v32, vcc_lo, v13, v32, vcc_lo
	v_pack_b32_f16 v60, v75, v60
	v_mov_b32_e32 v36, v14
	v_fmac_f16_e32 v55, 0x34f2, v120
	v_fmac_f16_e32 v56, 0x34f2, v121
	s_clause 0x1
	global_store_b32 v[20:21], v59, off
	global_store_b32 v[31:32], v60, off
	v_lshlrev_b64_e32 v[20:21], 2, v[29:30]
	v_mad_co_u64_u32 v[28:29], null, s8, v37, 0
	v_lshlrev_b64_e32 v[30:31], 2, v[35:36]
	v_fmac_f16_e32 v57, 0x38b4, v116
	v_fmac_f16_e32 v58, 0xb8b4, v123
	v_pack_b32_f16 v38, v56, v55
	v_add_nc_u32_e32 v40, 0x77, v37
	v_add_nc_u32_e32 v55, 0xee, v37
	v_lshlrev_b64_e32 v[26:27], 2, v[33:34]
	v_fmac_f16_e32 v57, 0x34f2, v120
	v_fmac_f16_e32 v58, 0x34f2, v121
	v_add_co_u32 v20, vcc_lo, v12, v20
	v_mad_co_u64_u32 v[32:33], null, s9, v37, v[29:30]
	v_mad_co_u64_u32 v[14:15], null, s8, v40, 0
	v_mad_co_u64_u32 v[33:34], null, s8, v55, 0
	v_fmac_f16_e64 v54, 0xb8b4, v128
	s_wait_alu 0xfffd
	v_add_co_ci_u32_e32 v21, vcc_lo, v13, v21, vcc_lo
	v_add_co_u32 v26, vcc_lo, v12, v26
	s_wait_alu 0xfffd
	v_add_co_ci_u32_e32 v27, vcc_lo, v13, v27, vcc_lo
	v_pack_b32_f16 v51, v58, v57
	v_fmac_f16_e32 v54, 0x34f2, v117
	v_mad_co_u64_u32 v[35:36], null, s9, v40, v[15:16]
	s_clause 0x1
	global_store_b32 v[20:21], v38, off
	global_store_b32 v[26:27], v51, off
	v_mov_b32_e32 v20, v34
	v_add_co_u32 v30, vcc_lo, v12, v30
	s_wait_alu 0xfffd
	v_add_co_ci_u32_e32 v31, vcc_lo, v13, v31, vcc_lo
	v_pack_b32_f16 v15, v54, v53
	v_mad_co_u64_u32 v[20:21], null, s9, v55, v[20:21]
	v_dual_mov_b32 v29, v32 :: v_dual_add_nc_u32 v32, 0x165, v37
	global_store_b32 v[30:31], v15, off
	v_mov_b32_e32 v15, v35
	v_mul_hi_u32 v30, 0x44d72045, v25
	v_add_nc_u32_e32 v35, 0x1dc, v37
	v_lshlrev_b64_e32 v[26:27], 2, v[28:29]
	v_mov_b32_e32 v34, v20
	v_mad_co_u64_u32 v[20:21], null, s8, v32, 0
	s_delay_alu instid0(VALU_DEP_4)
	v_mad_co_u64_u32 v[28:29], null, s8, v35, 0
	v_fma_f16 v49, 0x3b9c, v139, v44
	v_fmac_f16_e64 v44, 0xbb9c, v139
	v_lshrrev_b32_e32 v36, 5, v30
	v_lshlrev_b64_e32 v[14:15], 2, v[14:15]
	v_add_f16_e64 v115, v143, v144
	v_add_co_u32 v26, vcc_lo, v12, v26
	v_fmac_f16_e64 v44, 0x38b4, v138
	v_lshlrev_b64_e32 v[30:31], 2, v[33:34]
	v_mad_u32_u24 v40, 0x1dc, v36, v25
	v_mad_co_u64_u32 v[32:33], null, s9, v32, v[21:22]
	v_mov_b32_e32 v21, v29
	s_wait_alu 0xfffd
	v_add_co_ci_u32_e32 v27, vcc_lo, v13, v27, vcc_lo
	v_fmac_f16_e32 v44, 0x34f2, v115
	v_add_co_u32 v14, vcc_lo, v12, v14
	s_wait_alu 0xfffd
	v_add_co_ci_u32_e32 v15, vcc_lo, v13, v15, vcc_lo
	v_mad_co_u64_u32 v[33:34], null, s8, v40, 0
	v_mad_co_u64_u32 v[35:36], null, s9, v35, v[21:22]
	v_add_co_u32 v29, vcc_lo, v12, v30
	v_pack_b32_f16 v38, v52, v50
	s_wait_alu 0xfffd
	v_add_co_ci_u32_e32 v30, vcc_lo, v13, v31, vcc_lo
	v_pack_b32_f16 v25, v44, v42
	v_pack_b32_f16 v37, v47, v46
	v_mov_b32_e32 v21, v32
	s_clause 0x1
	global_store_b32 v[26:27], v38, off
	global_store_b32 v[14:15], v37, off
	v_mov_b32_e32 v14, v34
	global_store_b32 v[29:30], v25, off
	v_dual_mov_b32 v29, v35 :: v_dual_add_nc_u32 v32, 0x77, v40
	v_lshlrev_b64_e32 v[20:21], 2, v[20:21]
	v_mad_co_u64_u32 v[14:15], null, s9, v40, v[14:15]
	s_delay_alu instid0(VALU_DEP_3) | instskip(NEXT) | instid1(VALU_DEP_4)
	v_lshlrev_b64_e32 v[25:26], 2, v[28:29]
	v_mad_co_u64_u32 v[27:28], null, s8, v32, 0
	s_delay_alu instid0(VALU_DEP_4)
	v_add_co_u32 v20, vcc_lo, v12, v20
	v_add_nc_u32_e32 v37, 0xee, v40
	s_wait_alu 0xfffd
	v_add_co_ci_u32_e32 v21, vcc_lo, v13, v21, vcc_lo
	v_mov_b32_e32 v34, v14
	v_add_co_u32 v14, vcc_lo, v12, v25
	v_mov_b32_e32 v25, v28
	v_fmac_f16_e64 v49, 0xb8b4, v138
	v_mad_co_u64_u32 v[30:31], null, s8, v37, 0
	v_add_nc_u32_e32 v42, 0x165, v40
	s_wait_alu 0xfffd
	v_add_co_ci_u32_e32 v15, vcc_lo, v13, v26, vcc_lo
	v_lshlrev_b64_e32 v[28:29], 2, v[33:34]
	v_mad_co_u64_u32 v[25:26], null, s9, v32, v[25:26]
	v_fmac_f16_e32 v49, 0x34f2, v115
	v_mad_co_u64_u32 v[34:35], null, s8, v42, 0
	s_delay_alu instid0(VALU_DEP_4) | instskip(NEXT) | instid1(VALU_DEP_3)
	v_add_co_u32 v32, vcc_lo, v12, v28
	v_pack_b32_f16 v36, v49, v48
	v_mov_b32_e32 v26, v31
	v_pack_b32_f16 v38, v45, v43
	s_wait_alu 0xfffd
	v_add_co_ci_u32_e32 v33, vcc_lo, v13, v29, vcc_lo
	v_pack_b32_f16 v29, v19, v18
	v_mov_b32_e32 v28, v25
	v_mad_co_u64_u32 v[18:19], null, s9, v37, v[26:27]
	s_clause 0x2
	global_store_b32 v[20:21], v36, off
	global_store_b32 v[14:15], v38, off
	global_store_b32 v[32:33], v29, off
	v_mov_b32_e32 v14, v35
	v_lshlrev_b64_e32 v[19:20], 2, v[27:28]
	v_add_nc_u32_e32 v28, 0x1dc, v40
	v_fma_f16 v17, 0x3b9c, v135, v23
	v_fmac_f16_e64 v23, 0xbb9c, v135
	v_mad_co_u64_u32 v[14:15], null, s9, v42, v[14:15]
	s_delay_alu instid0(VALU_DEP_4) | instskip(SKIP_4) | instid1(VALU_DEP_3)
	v_mad_co_u64_u32 v[25:26], null, s8, v28, 0
	v_mov_b32_e32 v31, v18
	v_add_co_u32 v18, vcc_lo, v12, v19
	s_wait_alu 0xfffd
	v_add_co_ci_u32_e32 v19, vcc_lo, v13, v20, vcc_lo
	v_lshlrev_b64_e32 v[20:21], 2, v[30:31]
	v_mov_b32_e32 v35, v14
	v_mul_hi_u32 v30, 0x44d72045, v24
	v_fmac_f16_e64 v23, 0x38b4, v134
	v_mov_b32_e32 v14, v26
	v_fma_f16 v11, 0xbb9c, v134, v41
	v_fmac_f16_e64 v41, 0x3b9c, v134
	v_lshlrev_b64_e32 v[26:27], 2, v[34:35]
	v_fmac_f16_e32 v23, 0x34f2, v114
	v_mad_co_u64_u32 v[14:15], null, s9, v28, v[14:15]
	s_delay_alu instid0(VALU_DEP_4)
	v_fmac_f16_e64 v41, 0x38b4, v135
	v_add_co_u32 v20, vcc_lo, v12, v20
	v_lshrrev_b32_e32 v15, 5, v30
	v_fmac_f16_e64 v17, 0xb8b4, v134
	s_wait_alu 0xfffd
	v_add_co_ci_u32_e32 v21, vcc_lo, v13, v21, vcc_lo
	v_pack_b32_f16 v31, v23, v22
	v_add_co_u32 v22, vcc_lo, v12, v26
	v_fmac_f16_e32 v41, 0x34f2, v118
	s_wait_alu 0xfffd
	v_add_co_ci_u32_e32 v23, vcc_lo, v13, v27, vcc_lo
	v_mad_u32_u24 v27, 0x1dc, v15, v24
	v_fmac_f16_e32 v17, 0x34f2, v114
	v_mov_b32_e32 v26, v14
	v_pack_b32_f16 v29, v41, v39
	v_fmac_f16_e64 v11, 0xb8b4, v135
	v_add_nc_u32_e32 v24, 0x77, v27
	v_pack_b32_f16 v16, v17, v16
	v_lshlrev_b64_e32 v[14:15], 2, v[25:26]
	v_add_nc_u32_e32 v25, 0xee, v27
	s_clause 0x2
	global_store_b32 v[18:19], v29, off
	global_store_b32 v[20:21], v31, off
	global_store_b32 v[22:23], v16, off
	v_mad_co_u64_u32 v[16:17], null, s8, v27, 0
	v_mad_co_u64_u32 v[18:19], null, s8, v24, 0
	;; [unrolled: 1-line block ×3, first 2 shown]
	v_fmac_f16_e32 v11, 0x34f2, v118
	v_add_nc_u32_e32 v28, 0x165, v27
	v_add_co_u32 v14, vcc_lo, v12, v14
	v_mad_co_u64_u32 v[22:23], null, s9, v27, v[17:18]
	s_delay_alu instid0(VALU_DEP_4)
	v_pack_b32_f16 v26, v11, v10
	v_mad_co_u64_u32 v[10:11], null, s9, v24, v[19:20]
	v_mov_b32_e32 v11, v21
	v_mad_co_u64_u32 v[23:24], null, s8, v28, 0
	v_mov_b32_e32 v17, v22
	s_wait_alu 0xfffd
	v_add_co_ci_u32_e32 v15, vcc_lo, v13, v15, vcc_lo
	v_mad_co_u64_u32 v[21:22], null, s9, v25, v[11:12]
	v_add_nc_u32_e32 v22, 0x1dc, v27
	global_store_b32 v[14:15], v26, off
	v_lshlrev_b64_e32 v[14:15], 2, v[16:17]
	v_dual_mov_b32 v19, v10 :: v_dual_mov_b32 v10, v24
	v_mad_co_u64_u32 v[16:17], null, s8, v22, 0
	v_pack_b32_f16 v25, v9, v8
	s_delay_alu instid0(VALU_DEP_3) | instskip(NEXT) | instid1(VALU_DEP_4)
	v_lshlrev_b64_e32 v[8:9], 2, v[18:19]
	v_mad_co_u64_u32 v[10:11], null, s9, v28, v[10:11]
	v_lshlrev_b64_e32 v[18:19], 2, v[20:21]
	v_add_co_u32 v14, vcc_lo, v12, v14
	v_mov_b32_e32 v11, v17
	v_fmac_f16_e32 v6, 0x34f2, v124
	v_fmac_f16_e32 v7, 0x34f2, v125
	v_mov_b32_e32 v24, v10
	s_wait_alu 0xfffd
	v_add_co_ci_u32_e32 v15, vcc_lo, v13, v15, vcc_lo
	v_mad_co_u64_u32 v[20:21], null, s9, v22, v[11:12]
	v_add_co_u32 v8, vcc_lo, v12, v8
	v_pack_b32_f16 v21, v3, v2
	v_lshlrev_b64_e32 v[2:3], 2, v[23:24]
	s_wait_alu 0xfffd
	v_add_co_ci_u32_e32 v9, vcc_lo, v13, v9, vcc_lo
	v_mov_b32_e32 v17, v20
	v_add_co_u32 v10, vcc_lo, v12, v18
	v_pack_b32_f16 v18, v7, v6
	v_fmac_f16_e32 v0, 0x34f2, v124
	s_delay_alu instid0(VALU_DEP_4)
	v_lshlrev_b64_e32 v[6:7], 2, v[16:17]
	v_fmac_f16_e32 v1, 0x34f2, v125
	s_wait_alu 0xfffd
	v_add_co_ci_u32_e32 v11, vcc_lo, v13, v19, vcc_lo
	v_add_co_u32 v2, vcc_lo, v12, v2
	s_wait_alu 0xfffd
	v_add_co_ci_u32_e32 v3, vcc_lo, v13, v3, vcc_lo
	v_pack_b32_f16 v16, v1, v0
	v_add_co_u32 v0, vcc_lo, v12, v6
	s_wait_alu 0xfffd
	v_add_co_ci_u32_e32 v1, vcc_lo, v13, v7, vcc_lo
	v_pack_b32_f16 v4, v5, v4
	s_clause 0x4
	global_store_b32 v[14:15], v25, off
	global_store_b32 v[8:9], v21, off
	;; [unrolled: 1-line block ×5, first 2 shown]
.LBB0_22:
	s_nop 0
	s_sendmsg sendmsg(MSG_DEALLOC_VGPRS)
	s_endpgm
	.section	.rodata,"a",@progbits
	.p2align	6, 0x0
	.amdhsa_kernel fft_rtc_fwd_len595_factors_7_17_5_wgs_51_tpt_17_halfLds_half_ip_CI_sbrr_dirReg
		.amdhsa_group_segment_fixed_size 0
		.amdhsa_private_segment_fixed_size 0
		.amdhsa_kernarg_size 88
		.amdhsa_user_sgpr_count 2
		.amdhsa_user_sgpr_dispatch_ptr 0
		.amdhsa_user_sgpr_queue_ptr 0
		.amdhsa_user_sgpr_kernarg_segment_ptr 1
		.amdhsa_user_sgpr_dispatch_id 0
		.amdhsa_user_sgpr_private_segment_size 0
		.amdhsa_wavefront_size32 1
		.amdhsa_uses_dynamic_stack 0
		.amdhsa_enable_private_segment 0
		.amdhsa_system_sgpr_workgroup_id_x 1
		.amdhsa_system_sgpr_workgroup_id_y 0
		.amdhsa_system_sgpr_workgroup_id_z 0
		.amdhsa_system_sgpr_workgroup_info 0
		.amdhsa_system_vgpr_workitem_id 0
		.amdhsa_next_free_vgpr 234
		.amdhsa_next_free_sgpr 35
		.amdhsa_reserve_vcc 1
		.amdhsa_float_round_mode_32 0
		.amdhsa_float_round_mode_16_64 0
		.amdhsa_float_denorm_mode_32 3
		.amdhsa_float_denorm_mode_16_64 3
		.amdhsa_fp16_overflow 0
		.amdhsa_workgroup_processor_mode 1
		.amdhsa_memory_ordered 1
		.amdhsa_forward_progress 0
		.amdhsa_round_robin_scheduling 0
		.amdhsa_exception_fp_ieee_invalid_op 0
		.amdhsa_exception_fp_denorm_src 0
		.amdhsa_exception_fp_ieee_div_zero 0
		.amdhsa_exception_fp_ieee_overflow 0
		.amdhsa_exception_fp_ieee_underflow 0
		.amdhsa_exception_fp_ieee_inexact 0
		.amdhsa_exception_int_div_zero 0
	.end_amdhsa_kernel
	.text
.Lfunc_end0:
	.size	fft_rtc_fwd_len595_factors_7_17_5_wgs_51_tpt_17_halfLds_half_ip_CI_sbrr_dirReg, .Lfunc_end0-fft_rtc_fwd_len595_factors_7_17_5_wgs_51_tpt_17_halfLds_half_ip_CI_sbrr_dirReg
                                        ; -- End function
	.section	.AMDGPU.csdata,"",@progbits
; Kernel info:
; codeLenInByte = 36756
; NumSgprs: 37
; NumVgprs: 234
; ScratchSize: 0
; MemoryBound: 0
; FloatMode: 240
; IeeeMode: 1
; LDSByteSize: 0 bytes/workgroup (compile time only)
; SGPRBlocks: 4
; VGPRBlocks: 29
; NumSGPRsForWavesPerEU: 37
; NumVGPRsForWavesPerEU: 234
; Occupancy: 6
; WaveLimiterHint : 1
; COMPUTE_PGM_RSRC2:SCRATCH_EN: 0
; COMPUTE_PGM_RSRC2:USER_SGPR: 2
; COMPUTE_PGM_RSRC2:TRAP_HANDLER: 0
; COMPUTE_PGM_RSRC2:TGID_X_EN: 1
; COMPUTE_PGM_RSRC2:TGID_Y_EN: 0
; COMPUTE_PGM_RSRC2:TGID_Z_EN: 0
; COMPUTE_PGM_RSRC2:TIDIG_COMP_CNT: 0
	.text
	.p2alignl 7, 3214868480
	.fill 96, 4, 3214868480
	.type	__hip_cuid_ff54c651c25b7338,@object ; @__hip_cuid_ff54c651c25b7338
	.section	.bss,"aw",@nobits
	.globl	__hip_cuid_ff54c651c25b7338
__hip_cuid_ff54c651c25b7338:
	.byte	0                               ; 0x0
	.size	__hip_cuid_ff54c651c25b7338, 1

	.ident	"AMD clang version 19.0.0git (https://github.com/RadeonOpenCompute/llvm-project roc-6.4.0 25133 c7fe45cf4b819c5991fe208aaa96edf142730f1d)"
	.section	".note.GNU-stack","",@progbits
	.addrsig
	.addrsig_sym __hip_cuid_ff54c651c25b7338
	.amdgpu_metadata
---
amdhsa.kernels:
  - .args:
      - .actual_access:  read_only
        .address_space:  global
        .offset:         0
        .size:           8
        .value_kind:     global_buffer
      - .offset:         8
        .size:           8
        .value_kind:     by_value
      - .actual_access:  read_only
        .address_space:  global
        .offset:         16
        .size:           8
        .value_kind:     global_buffer
      - .actual_access:  read_only
        .address_space:  global
        .offset:         24
        .size:           8
        .value_kind:     global_buffer
      - .offset:         32
        .size:           8
        .value_kind:     by_value
      - .actual_access:  read_only
        .address_space:  global
        .offset:         40
        .size:           8
        .value_kind:     global_buffer
      - .actual_access:  read_only
        .address_space:  global
        .offset:         48
        .size:           8
        .value_kind:     global_buffer
      - .offset:         56
        .size:           4
        .value_kind:     by_value
      - .actual_access:  read_only
        .address_space:  global
        .offset:         64
        .size:           8
        .value_kind:     global_buffer
      - .actual_access:  read_only
        .address_space:  global
        .offset:         72
        .size:           8
        .value_kind:     global_buffer
      - .address_space:  global
        .offset:         80
        .size:           8
        .value_kind:     global_buffer
    .group_segment_fixed_size: 0
    .kernarg_segment_align: 8
    .kernarg_segment_size: 88
    .language:       OpenCL C
    .language_version:
      - 2
      - 0
    .max_flat_workgroup_size: 51
    .name:           fft_rtc_fwd_len595_factors_7_17_5_wgs_51_tpt_17_halfLds_half_ip_CI_sbrr_dirReg
    .private_segment_fixed_size: 0
    .sgpr_count:     37
    .sgpr_spill_count: 0
    .symbol:         fft_rtc_fwd_len595_factors_7_17_5_wgs_51_tpt_17_halfLds_half_ip_CI_sbrr_dirReg.kd
    .uniform_work_group_size: 1
    .uses_dynamic_stack: false
    .vgpr_count:     234
    .vgpr_spill_count: 0
    .wavefront_size: 32
    .workgroup_processor_mode: 1
amdhsa.target:   amdgcn-amd-amdhsa--gfx1201
amdhsa.version:
  - 1
  - 2
...

	.end_amdgpu_metadata
